;; amdgpu-corpus repo=ROCm/rocFFT kind=compiled arch=gfx1201 opt=O3
	.text
	.amdgcn_target "amdgcn-amd-amdhsa--gfx1201"
	.amdhsa_code_object_version 6
	.protected	bluestein_single_fwd_len363_dim1_sp_op_CI_CI ; -- Begin function bluestein_single_fwd_len363_dim1_sp_op_CI_CI
	.globl	bluestein_single_fwd_len363_dim1_sp_op_CI_CI
	.p2align	8
	.type	bluestein_single_fwd_len363_dim1_sp_op_CI_CI,@function
bluestein_single_fwd_len363_dim1_sp_op_CI_CI: ; @bluestein_single_fwd_len363_dim1_sp_op_CI_CI
; %bb.0:
	s_load_b128 s[12:15], s[0:1], 0x28
	v_mul_u32_u24_e32 v1, 0x7c2, v0
	s_mov_b32 s2, exec_lo
	s_delay_alu instid0(VALU_DEP_1) | instskip(NEXT) | instid1(VALU_DEP_1)
	v_lshrrev_b32_e32 v1, 16, v1
	v_mad_co_u64_u32 v[58:59], null, ttmp9, 3, v[1:2]
	v_mov_b32_e32 v59, 0
                                        ; kill: def $vgpr2 killed $sgpr0 killed $exec
	s_wait_kmcnt 0x0
	s_delay_alu instid0(VALU_DEP_1)
	v_cmpx_gt_u64_e64 s[12:13], v[58:59]
	s_cbranch_execz .LBB0_10
; %bb.1:
	s_clause 0x1
	s_load_b128 s[4:7], s[0:1], 0x18
	s_load_b128 s[8:11], s[0:1], 0x0
	v_mul_lo_u16 v1, v1, 33
	s_load_b64 s[0:1], s[0:1], 0x38
	s_delay_alu instid0(VALU_DEP_1) | instskip(NEXT) | instid1(VALU_DEP_1)
	v_sub_nc_u16 v8, v0, v1
	v_and_b32_e32 v85, 0xffff, v8
	s_delay_alu instid0(VALU_DEP_1)
	v_lshlrev_b32_e32 v89, 3, v85
	s_wait_kmcnt 0x0
	s_load_b128 s[16:19], s[4:5], 0x0
	s_clause 0x8
	global_load_b64 v[79:80], v89, s[8:9]
	global_load_b64 v[75:76], v89, s[8:9] offset:264
	global_load_b64 v[77:78], v89, s[8:9] offset:528
	;; [unrolled: 1-line block ×8, first 2 shown]
	s_wait_kmcnt 0x0
	v_mad_co_u64_u32 v[0:1], null, s18, v58, 0
	v_mad_co_u64_u32 v[2:3], null, s16, v85, 0
	s_mul_u64 s[2:3], s[16:17], 0x108
	s_delay_alu instid0(VALU_DEP_1) | instskip(NEXT) | instid1(VALU_DEP_1)
	v_mad_co_u64_u32 v[4:5], null, s19, v58, v[1:2]
	v_mad_co_u64_u32 v[5:6], null, s17, v85, v[3:4]
	v_mov_b32_e32 v1, v4
	s_delay_alu instid0(VALU_DEP_1) | instskip(NEXT) | instid1(VALU_DEP_3)
	v_lshlrev_b64_e32 v[0:1], 3, v[0:1]
	v_mov_b32_e32 v3, v5
	s_delay_alu instid0(VALU_DEP_2) | instskip(NEXT) | instid1(VALU_DEP_2)
	v_add_co_u32 v0, vcc_lo, s14, v0
	v_lshlrev_b64_e32 v[2:3], 3, v[2:3]
	s_delay_alu instid0(VALU_DEP_4) | instskip(NEXT) | instid1(VALU_DEP_2)
	v_add_co_ci_u32_e32 v1, vcc_lo, s15, v1, vcc_lo
	v_add_co_u32 v0, vcc_lo, v0, v2
	s_wait_alu 0xfffd
	s_delay_alu instid0(VALU_DEP_2) | instskip(NEXT) | instid1(VALU_DEP_2)
	v_add_co_ci_u32_e32 v1, vcc_lo, v1, v3, vcc_lo
	v_add_co_u32 v2, vcc_lo, v0, s2
	s_wait_alu 0xfffd
	s_delay_alu instid0(VALU_DEP_2)
	v_add_co_ci_u32_e32 v3, vcc_lo, s3, v1, vcc_lo
	global_load_b64 v[0:1], v[0:1], off
	v_add_co_u32 v4, vcc_lo, v2, s2
	s_wait_alu 0xfffd
	v_add_co_ci_u32_e32 v5, vcc_lo, s3, v3, vcc_lo
	global_load_b64 v[2:3], v[2:3], off
	v_add_co_u32 v6, vcc_lo, v4, s2
	s_wait_alu 0xfffd
	v_add_co_ci_u32_e32 v7, vcc_lo, s3, v5, vcc_lo
	s_delay_alu instid0(VALU_DEP_2) | instskip(SKIP_1) | instid1(VALU_DEP_2)
	v_add_co_u32 v9, vcc_lo, v6, s2
	s_wait_alu 0xfffd
	v_add_co_ci_u32_e32 v10, vcc_lo, s3, v7, vcc_lo
	s_delay_alu instid0(VALU_DEP_2) | instskip(SKIP_1) | instid1(VALU_DEP_2)
	v_add_co_u32 v11, vcc_lo, v9, s2
	s_wait_alu 0xfffd
	v_add_co_ci_u32_e32 v12, vcc_lo, s3, v10, vcc_lo
	s_clause 0x2
	global_load_b64 v[13:14], v[4:5], off
	global_load_b64 v[5:6], v[6:7], off
	;; [unrolled: 1-line block ×3, first 2 shown]
	v_add_co_u32 v15, vcc_lo, v11, s2
	s_wait_alu 0xfffd
	v_add_co_ci_u32_e32 v16, vcc_lo, s3, v12, vcc_lo
	global_load_b64 v[11:12], v[11:12], off
	v_add_co_u32 v17, vcc_lo, v15, s2
	s_wait_alu 0xfffd
	v_add_co_ci_u32_e32 v18, vcc_lo, s3, v16, vcc_lo
	global_load_b64 v[15:16], v[15:16], off
	;; [unrolled: 4-line block ×4, first 2 shown]
	v_add_co_u32 v23, vcc_lo, v21, s2
	s_wait_alu 0xfffd
	v_add_co_ci_u32_e32 v24, vcc_lo, s3, v22, vcc_lo
	v_mul_hi_u32 v4, 0xaaaaaaab, v58
	v_cmp_gt_u16_e32 vcc_lo, 22, v8
	s_delay_alu instid0(VALU_DEP_2) | instskip(NEXT) | instid1(VALU_DEP_1)
	v_lshrrev_b32_e32 v4, 1, v4
	v_lshl_add_u32 v4, v4, 1, v4
	s_delay_alu instid0(VALU_DEP_1) | instskip(NEXT) | instid1(VALU_DEP_1)
	v_sub_nc_u32_e32 v4, v58, v4
	v_mul_u32_u24_e32 v4, 0x16b, v4
	s_delay_alu instid0(VALU_DEP_1)
	v_lshlrev_b32_e32 v87, 3, v4
	s_wait_loadcnt 0x8
	v_mul_f32_e32 v4, v0, v80
	v_mul_f32_e32 v25, v1, v80
	s_wait_loadcnt 0x7
	v_mul_f32_e32 v27, v3, v76
	v_mul_f32_e32 v7, v2, v76
	v_fma_f32 v26, v1, v79, -v4
	v_fmac_f32_e32 v25, v0, v79
	s_delay_alu instid0(VALU_DEP_4)
	v_fmac_f32_e32 v27, v2, v75
	s_wait_loadcnt 0x6
	v_mul_f32_e32 v1, v13, v78
	s_wait_loadcnt 0x5
	v_mul_f32_e32 v2, v6, v62
	global_load_b64 v[21:22], v[21:22], off
	s_clause 0x1
	global_load_b64 v[71:72], v89, s[8:9] offset:2376
	global_load_b64 v[73:74], v89, s[8:9] offset:2640
	global_load_b64 v[23:24], v[23:24], off
	v_mul_f32_e32 v0, v14, v78
	s_load_b128 s[4:7], s[6:7], 0x0
	v_fma_f32 v1, v14, v77, -v1
	v_fmac_f32_e32 v2, v5, v61
	s_wait_loadcnt 0x7
	v_mul_f32_e32 v14, v11, v70
	v_fma_f32 v28, v3, v75, -v7
	v_mul_f32_e32 v3, v5, v62
	v_dual_mul_f32 v5, v10, v68 :: v_dual_fmac_f32 v0, v13, v77
	v_mul_f32_e32 v7, v9, v68
	v_mul_f32_e32 v13, v12, v70
	s_delay_alu instid0(VALU_DEP_4) | instskip(NEXT) | instid1(VALU_DEP_4)
	v_fma_f32 v3, v6, v61, -v3
	v_fmac_f32_e32 v5, v9, v67
	s_wait_loadcnt 0x6
	v_mul_f32_e32 v9, v16, v60
	v_fma_f32 v6, v10, v67, -v7
	v_fmac_f32_e32 v13, v11, v69
	v_fma_f32 v14, v12, v69, -v14
	v_mul_f32_e32 v7, v15, v60
	s_wait_loadcnt 0x5
	v_mul_f32_e32 v11, v18, v64
	v_mul_f32_e32 v12, v17, v64
	v_add_nc_u32_e32 v86, v89, v87
	v_fmac_f32_e32 v9, v15, v59
	s_wait_loadcnt 0x4
	v_mul_f32_e32 v15, v20, v66
	v_fma_f32 v10, v16, v59, -v7
	v_fmac_f32_e32 v11, v17, v63
	v_fma_f32 v12, v18, v63, -v12
	v_mul_f32_e32 v7, v19, v66
	v_dual_fmac_f32 v15, v19, v65 :: v_dual_add_nc_u32 v4, 0x800, v86
	s_delay_alu instid0(VALU_DEP_2)
	v_fma_f32 v16, v20, v65, -v7
	s_wait_loadcnt 0x2
	v_mul_f32_e32 v17, v22, v72
	v_mul_f32_e32 v18, v21, v72
	ds_store_2addr_b64 v86, v[25:26], v[27:28] offset1:33
	s_wait_loadcnt 0x0
	v_mul_f32_e32 v19, v24, v74
	v_mul_f32_e32 v25, v23, v74
	v_fmac_f32_e32 v17, v21, v71
	v_fma_f32 v18, v22, v71, -v18
	s_delay_alu instid0(VALU_DEP_4) | instskip(NEXT) | instid1(VALU_DEP_4)
	v_fmac_f32_e32 v19, v23, v73
	v_fma_f32 v20, v24, v73, -v25
	ds_store_2addr_b64 v86, v[0:1], v[2:3] offset0:66 offset1:99
	ds_store_2addr_b64 v86, v[5:6], v[13:14] offset0:132 offset1:165
	;; [unrolled: 1-line block ×4, first 2 shown]
	ds_store_b64 v86, v[19:20] offset:2640
	global_wb scope:SCOPE_SE
	s_wait_dscnt 0x0
	s_wait_kmcnt 0x0
	s_barrier_signal -1
	s_barrier_wait -1
	global_inv scope:SCOPE_SE
	ds_load_2addr_b64 v[0:3], v86 offset1:33
	ds_load_b64 v[21:22], v86 offset:2640
	ds_load_2addr_b64 v[9:12], v86 offset0:66 offset1:99
	ds_load_2addr_b64 v[4:7], v4 offset0:8 offset1:41
	v_mul_lo_u16 v13, v8, 11
	s_wait_dscnt 0x3
	v_add_f32_e32 v24, v1, v3
	s_wait_dscnt 0x0
	v_dual_sub_f32 v34, v11, v4 :: v_dual_sub_f32 v31, v10, v7
	v_add_f32_e32 v33, v5, v12
	v_dual_sub_f32 v35, v12, v5 :: v_dual_add_f32 v26, v21, v2
	s_delay_alu instid0(VALU_DEP_3)
	v_mul_f32_e32 v90, 0xbf7d64f0, v34
	v_mul_f32_e32 v91, 0x3e903f40, v34
	;; [unrolled: 1-line block ×5, first 2 shown]
	v_dual_add_f32 v29, v7, v10 :: v_dual_mul_f32 v84, 0xbf0a6770, v35
	v_dual_add_f32 v10, v24, v10 :: v_dual_and_b32 v13, 0xffff, v13
	v_dual_add_f32 v23, v0, v2 :: v_dual_mul_f32 v56, 0x3f7d64f0, v31
	v_sub_f32_e32 v2, v2, v21
	s_delay_alu instid0(VALU_DEP_3) | instskip(NEXT) | instid1(VALU_DEP_4)
	v_add_f32_e32 v10, v10, v12
	v_lshl_add_u32 v88, v13, 3, v87
	ds_load_2addr_b64 v[13:16], v86 offset0:132 offset1:165
	ds_load_2addr_b64 v[17:20], v86 offset0:198 offset1:231
	v_dual_sub_f32 v30, v9, v6 :: v_dual_add_f32 v27, v22, v3
	v_dual_sub_f32 v3, v3, v22 :: v_dual_mul_f32 v82, 0x3e903f40, v35
	v_add_f32_e32 v28, v6, v9
	v_mul_f32_e32 v24, 0xbf0a6770, v2
	s_delay_alu instid0(VALU_DEP_4) | instskip(NEXT) | instid1(VALU_DEP_4)
	v_mul_f32_e32 v53, 0xbf4178ce, v30
	v_mul_f32_e32 v44, 0xbf68dda4, v3
	;; [unrolled: 1-line block ×6, first 2 shown]
	v_fma_f32 v110, 0x3ed4b147, v26, -v44
	v_fmac_f32_e32 v44, 0x3ed4b147, v26
	v_mul_f32_e32 v47, 0xbf7d64f0, v2
	v_fma_f32 v114, 0xbf27a4f4, v26, -v48
	v_dual_fmac_f32 v48, 0xbf27a4f4, v26 :: v_dual_fmamk_f32 v119, v29, 0xbf27a4f4, v53
	s_wait_dscnt 0x0
	v_dual_mul_f32 v55, 0x3e903f40, v30 :: v_dual_sub_f32 v38, v13, v19
	v_add_f32_e32 v9, v23, v9
	v_dual_sub_f32 v39, v14, v20 :: v_dual_mul_f32 v30, 0x3f0a6770, v30
	v_dual_sub_f32 v43, v16, v18 :: v_dual_fmamk_f32 v12, v27, 0x3f575c64, v24
	s_delay_alu instid0(VALU_DEP_3)
	v_dual_mul_f32 v100, 0xbf0a6770, v38 :: v_dual_add_f32 v9, v9, v11
	v_fma_f32 v24, 0x3f575c64, v27, -v24
	v_mul_f32_e32 v23, 0xbf0a6770, v3
	v_add_f32_e32 v32, v4, v11
	v_add_f32_e32 v36, v19, v13
	v_sub_f32_e32 v42, v15, v17
	v_dual_add_f32 v24, v1, v24 :: v_dual_mul_f32 v45, 0xbf68dda4, v2
	v_dual_mul_f32 v49, 0xbf4178ce, v2 :: v_dual_mul_f32 v104, 0xbf4178ce, v43
	s_delay_alu instid0(VALU_DEP_3)
	v_dual_mul_f32 v3, 0xbe903f40, v3 :: v_dual_mul_f32 v106, 0xbe903f40, v42
	v_mul_f32_e32 v2, 0xbe903f40, v2
	v_mul_f32_e32 v50, 0xbf68dda4, v31
	;; [unrolled: 1-line block ×7, first 2 shown]
	v_dual_mul_f32 v35, 0xbf4178ce, v35 :: v_dual_mul_f32 v108, 0xbf4178ce, v42
	v_mul_f32_e32 v98, 0xbf4178ce, v38
	v_dual_add_f32 v37, v20, v14 :: v_dual_mul_f32 v94, 0xbf4178ce, v39
	v_fma_f32 v11, 0x3f575c64, v26, -v23
	v_fma_f32 v112, 0xbe11bafb, v26, -v46
	v_fmac_f32_e32 v46, 0xbe11bafb, v26
	v_dual_add_f32 v44, v0, v44 :: v_dual_fmamk_f32 v113, v27, 0xbe11bafb, v47
	v_fma_f32 v47, 0xbe11bafb, v27, -v47
	v_dual_add_f32 v40, v17, v15 :: v_dual_add_f32 v41, v18, v16
	v_mul_f32_e32 v96, 0xbf0a6770, v39
	v_dual_mul_f32 v95, 0x3f7d64f0, v39 :: v_dual_add_f32 v46, v0, v46
	v_dual_mul_f32 v97, 0xbe903f40, v39 :: v_dual_add_f32 v10, v10, v14
	v_dual_mul_f32 v101, 0xbe903f40, v38 :: v_dual_mul_f32 v102, 0xbe903f40, v43
	v_fmac_f32_e32 v23, 0x3f575c64, v26
	v_fmamk_f32 v111, v27, 0x3ed4b147, v45
	v_fma_f32 v45, 0x3ed4b147, v27, -v45
	v_fmamk_f32 v115, v27, 0xbf27a4f4, v49
	v_fma_f32 v49, 0xbf27a4f4, v27, -v49
	v_fma_f32 v116, 0xbf75a155, v26, -v3
	v_dual_fmac_f32 v3, 0xbf75a155, v26 :: v_dual_fmamk_f32 v26, v27, 0xbf75a155, v2
	v_fma_f32 v2, 0xbf75a155, v27, -v2
	v_fma_f32 v27, 0x3ed4b147, v28, -v50
	v_fmac_f32_e32 v50, 0x3ed4b147, v28
	v_fma_f32 v118, 0xbf27a4f4, v28, -v52
	v_mul_f32_e32 v103, 0x3f0a6770, v43
	v_fmac_f32_e32 v52, 0xbf27a4f4, v28
	v_mul_f32_e32 v99, 0x3f7d64f0, v38
	v_mul_f32_e32 v38, 0x3f68dda4, v38
	v_fma_f32 v53, 0xbf27a4f4, v29, -v53
	v_fma_f32 v120, 0xbf75a155, v28, -v54
	v_mul_f32_e32 v107, 0x3f0a6770, v42
	v_fmac_f32_e32 v54, 0xbf75a155, v28
	v_fma_f32 v122, 0xbe11bafb, v28, -v56
	v_dual_fmamk_f32 v123, v29, 0xbe11bafb, v57 :: v_dual_fmac_f32 v56, 0xbe11bafb, v28
	v_fma_f32 v57, 0xbe11bafb, v29, -v57
	v_fma_f32 v124, 0x3f575c64, v28, -v31
	v_dual_fmac_f32 v31, 0x3f575c64, v28 :: v_dual_fmamk_f32 v138, v37, 0x3f575c64, v100
	v_fmamk_f32 v28, v29, 0x3f575c64, v30
	v_fma_f32 v125, 0xbf75a155, v32, -v82
	v_dual_fmac_f32 v82, 0xbf75a155, v32 :: v_dual_fmamk_f32 v129, v33, 0xbf75a155, v91
	v_fma_f32 v126, 0x3ed4b147, v32, -v83
	v_dual_fmac_f32 v83, 0x3ed4b147, v32 :: v_dual_fmamk_f32 v130, v33, 0x3ed4b147, v92
	;; [unrolled: 2-line block ×4, first 2 shown]
	v_fma_f32 v91, 0xbf75a155, v33, -v91
	v_fma_f32 v92, 0x3ed4b147, v33, -v92
	;; [unrolled: 1-line block ×3, first 2 shown]
	v_add_f32_e32 v11, v0, v11
	v_dual_add_f32 v47, v1, v47 :: v_dual_add_f32 v48, v0, v48
	v_fmamk_f32 v117, v29, 0x3ed4b147, v51
	v_fma_f32 v51, 0x3ed4b147, v29, -v51
	v_mul_f32_e32 v39, 0x3f68dda4, v39
	v_fmamk_f32 v121, v29, 0xbf75a155, v55
	v_mul_f32_e32 v105, 0x3f68dda4, v43
	v_mul_f32_e32 v43, 0xbf7d64f0, v43
	v_fma_f32 v55, 0xbf75a155, v29, -v55
	v_mul_f32_e32 v109, 0x3f68dda4, v42
	v_mul_f32_e32 v42, 0xbf7d64f0, v42
	v_fma_f32 v29, 0x3f575c64, v29, -v30
	v_fma_f32 v30, 0xbe11bafb, v32, -v81
	v_dual_fmac_f32 v81, 0xbe11bafb, v32 :: v_dual_fmamk_f32 v32, v33, 0xbe11bafb, v90
	v_fma_f32 v90, 0xbe11bafb, v33, -v90
	v_fma_f32 v33, 0xbf27a4f4, v33, -v34
	;; [unrolled: 1-line block ×3, first 2 shown]
	v_dual_fmac_f32 v94, 0xbf27a4f4, v36 :: v_dual_add_f32 v9, v9, v13
	v_dual_add_f32 v12, v1, v12 :: v_dual_add_nc_u32 v25, 0x400, v86
	v_fma_f32 v133, 0xbe11bafb, v36, -v95
	v_dual_fmac_f32 v95, 0xbe11bafb, v36 :: v_dual_fmamk_f32 v148, v41, 0xbe11bafb, v42
	v_fma_f32 v134, 0x3f575c64, v36, -v96
	v_dual_fmac_f32 v96, 0x3f575c64, v36 :: v_dual_fmamk_f32 v145, v41, 0x3f575c64, v107
	v_fma_f32 v135, 0xbf75a155, v36, -v97
	v_fmac_f32_e32 v97, 0xbf75a155, v36
	v_fma_f32 v136, 0x3ed4b147, v36, -v39
	v_dual_fmac_f32 v39, 0x3ed4b147, v36 :: v_dual_fmamk_f32 v140, v37, 0x3ed4b147, v38
	v_dual_fmamk_f32 v36, v37, 0xbf27a4f4, v98 :: v_dual_add_f32 v23, v0, v23
	v_fma_f32 v98, 0xbf27a4f4, v37, -v98
	v_fmamk_f32 v137, v37, 0xbe11bafb, v99
	v_fma_f32 v99, 0xbe11bafb, v37, -v99
	v_fma_f32 v100, 0x3f575c64, v37, -v100
	v_fmamk_f32 v139, v37, 0xbf75a155, v101
	v_fma_f32 v101, 0xbf75a155, v37, -v101
	v_fma_f32 v37, 0x3ed4b147, v37, -v38
	;; [unrolled: 1-line block ×3, first 2 shown]
	v_fmac_f32_e32 v102, 0xbf75a155, v40
	v_fma_f32 v141, 0x3f575c64, v40, -v103
	v_fmac_f32_e32 v103, 0x3f575c64, v40
	v_fma_f32 v142, 0xbf27a4f4, v40, -v104
	v_dual_fmac_f32 v104, 0xbf27a4f4, v40 :: v_dual_add_f32 v45, v1, v45
	v_fma_f32 v143, 0x3ed4b147, v40, -v105
	v_fmac_f32_e32 v105, 0x3ed4b147, v40
	v_fma_f32 v144, 0xbe11bafb, v40, -v43
	v_fmac_f32_e32 v43, 0xbe11bafb, v40
	v_fmamk_f32 v40, v41, 0xbf75a155, v106
	v_fma_f32 v106, 0xbf75a155, v41, -v106
	v_fma_f32 v107, 0x3f575c64, v41, -v107
	v_fmamk_f32 v146, v41, 0xbf27a4f4, v108
	v_fma_f32 v108, 0xbf27a4f4, v41, -v108
	v_fmamk_f32 v147, v41, 0x3ed4b147, v109
	v_fma_f32 v109, 0x3ed4b147, v41, -v109
	v_fma_f32 v41, 0xbe11bafb, v41, -v42
	v_add_f32_e32 v42, v0, v110
	v_dual_add_f32 v110, v1, v111 :: v_dual_add_f32 v111, v0, v112
	v_dual_add_f32 v112, v1, v113 :: v_dual_add_f32 v113, v0, v114
	v_add_f32_e32 v114, v1, v115
	v_add_f32_e32 v49, v1, v49
	;; [unrolled: 1-line block ×8, first 2 shown]
	v_dual_add_f32 v0, v0, v3 :: v_dual_add_f32 v3, v10, v16
	v_add_f32_e32 v16, v52, v44
	v_add_f32_e32 v14, v118, v42
	;; [unrolled: 1-line block ×6, first 2 shown]
	v_dual_add_f32 v16, v82, v16 :: v_dual_add_f32 v3, v3, v18
	v_dual_add_f32 v14, v125, v14 :: v_dual_add_f32 v11, v50, v23
	s_delay_alu instid0(VALU_DEP_4) | instskip(NEXT) | instid1(VALU_DEP_4)
	v_dual_add_f32 v12, v90, v12 :: v_dual_add_f32 v23, v53, v45
	v_add_f32_e32 v18, v126, v24
	s_delay_alu instid0(VALU_DEP_4) | instskip(SKIP_1) | instid1(VALU_DEP_4)
	v_add_f32_e32 v16, v95, v16
	v_add_f32_e32 v24, v83, v27
	v_dual_add_f32 v12, v98, v12 :: v_dual_add_f32 v45, v123, v114
	v_dual_add_f32 v13, v28, v13 :: v_dual_add_f32 v26, v121, v112
	s_delay_alu instid0(VALU_DEP_3) | instskip(SKIP_1) | instid1(VALU_DEP_4)
	v_add_f32_e32 v24, v96, v24
	v_add_f32_e32 v42, v55, v47
	;; [unrolled: 1-line block ×3, first 2 shown]
	v_dual_add_f32 v47, v57, v49 :: v_dual_add_f32 v0, v31, v0
	v_add_f32_e32 v2, v2, v17
	v_add_f32_e32 v10, v32, v10
	s_delay_alu instid0(VALU_DEP_4) | instskip(NEXT) | instid1(VALU_DEP_3)
	v_dual_add_f32 v28, v139, v28 :: v_dual_add_f32 v13, v132, v13
	v_dual_add_f32 v15, v119, v110 :: v_dual_add_f32 v2, v2, v19
	v_add_f32_e32 v17, v91, v23
	v_dual_add_f32 v23, v130, v26 :: v_dual_add_f32 v16, v103, v16
	v_add_f32_e32 v26, v92, v42
	;; [unrolled: 2-line block ×3, first 2 shown]
	v_add_f32_e32 v12, v147, v28
	v_dual_add_f32 v32, v140, v13 :: v_dual_add_f32 v3, v3, v20
	v_add_f32_e32 v20, v134, v18
	v_add_f32_e32 v30, v93, v47
	;; [unrolled: 1-line block ×3, first 2 shown]
	v_dual_add_f32 v0, v35, v0 :: v_dual_add_f32 v1, v29, v1
	v_add_f32_e32 v26, v100, v26
	v_add_f32_e32 v14, v133, v14
	v_dual_add_f32 v30, v101, v30 :: v_dual_add_f32 v9, v34, v9
	v_dual_add_f32 v15, v129, v15 :: v_dual_add_f32 v44, v122, v113
	v_add_f32_e32 v31, v128, v48
	v_add_f32_e32 v1, v33, v1
	;; [unrolled: 1-line block ×4, first 2 shown]
	v_dual_add_f32 v0, v38, v9 :: v_dual_add_f32 v15, v137, v15
	v_add_f32_e32 v2, v141, v14
	v_add_f32_e32 v14, v109, v30
	v_dual_add_f32 v11, v81, v11 :: v_dual_add_f32 v36, v3, v5
	s_delay_alu instid0(VALU_DEP_4) | instskip(SKIP_1) | instid1(VALU_DEP_3)
	v_add_f32_e32 v3, v145, v15
	v_add_f32_e32 v15, v35, v6
	v_dual_add_f32 v6, v43, v33 :: v_dual_add_f32 v11, v94, v11
	v_add_f32_e32 v27, v127, v44
	v_dual_add_f32 v29, v84, v46 :: v_dual_add_f32 v4, v142, v20
	s_delay_alu instid0(VALU_DEP_4) | instskip(NEXT) | instid1(VALU_DEP_4)
	v_dual_add_f32 v23, v138, v23 :: v_dual_add_f32 v20, v15, v21
	v_add_f32_e32 v18, v102, v11
	s_delay_alu instid0(VALU_DEP_4)
	v_add_f32_e32 v27, v135, v27
	v_add_f32_e32 v31, v136, v31
	;; [unrolled: 1-line block ×14, first 2 shown]
	v_dual_add_f32 v17, v107, v17 :: v_dual_add_f32 v10, v108, v26
	v_add_f32_e32 v21, v27, v22
	global_wb scope:SCOPE_SE
	s_barrier_signal -1
	s_barrier_wait -1
	global_inv scope:SCOPE_SE
	ds_store_2addr_b64 v88, v[11:12], v[23:24] offset0:4 offset1:5
	ds_store_2addr_b64 v88, v[6:7], v[13:14] offset0:6 offset1:7
	;; [unrolled: 1-line block ×3, first 2 shown]
	ds_store_b64 v88, v[18:19] offset:80
	ds_store_2addr_b64 v88, v[20:21], v[0:1] offset1:1
	ds_store_2addr_b64 v88, v[2:3], v[4:5] offset0:2 offset1:3
	global_wb scope:SCOPE_SE
	s_wait_dscnt 0x0
	s_barrier_signal -1
	s_barrier_wait -1
	global_inv scope:SCOPE_SE
	ds_load_2addr_b64 v[12:15], v86 offset1:33
	ds_load_2addr_b64 v[4:7], v86 offset0:66 offset1:121
	ds_load_2addr_b64 v[28:31], v25 offset0:114 offset1:147
	;; [unrolled: 1-line block ×3, first 2 shown]
	ds_load_b64 v[36:37], v86 offset:2464
	v_add_co_u32 v56, s2, s8, v89
	s_wait_alu 0xf1ff
	v_add_co_ci_u32_e64 v57, null, s9, 0, s2
                                        ; implicit-def: $vgpr38
	s_and_saveexec_b32 s2, vcc_lo
	s_cbranch_execz .LBB0_3
; %bb.2:
	ds_load_2addr_b64 v[16:19], v86 offset0:99 offset1:220
	ds_load_b64 v[38:39], v86 offset:2728
.LBB0_3:
	s_wait_alu 0xfffe
	s_or_b32 exec_lo, exec_lo, s2
	v_and_b32_e32 v0, 0xff, v85
	v_add_nc_u16 v1, v85, 33
	v_add_nc_u16 v2, v85, 0x42
	;; [unrolled: 1-line block ×3, first 2 shown]
	s_delay_alu instid0(VALU_DEP_4) | instskip(NEXT) | instid1(VALU_DEP_4)
	v_mul_lo_u16 v0, 0x75, v0
	v_and_b32_e32 v3, 0xff, v1
	s_delay_alu instid0(VALU_DEP_4) | instskip(NEXT) | instid1(VALU_DEP_4)
	v_and_b32_e32 v9, 0xff, v2
	v_and_b32_e32 v11, 0xff, v8
	s_delay_alu instid0(VALU_DEP_4) | instskip(NEXT) | instid1(VALU_DEP_4)
	v_lshrrev_b16 v0, 8, v0
	v_mul_lo_u16 v3, 0x75, v3
	s_delay_alu instid0(VALU_DEP_4) | instskip(NEXT) | instid1(VALU_DEP_4)
	v_mul_lo_u16 v9, 0x75, v9
	v_mul_lo_u16 v11, 0x75, v11
	s_delay_alu instid0(VALU_DEP_4) | instskip(NEXT) | instid1(VALU_DEP_4)
	v_sub_nc_u16 v10, v85, v0
	v_lshrrev_b16 v3, 8, v3
	s_delay_alu instid0(VALU_DEP_4) | instskip(NEXT) | instid1(VALU_DEP_4)
	v_lshrrev_b16 v9, 8, v9
	v_lshrrev_b16 v11, 8, v11
	s_delay_alu instid0(VALU_DEP_4) | instskip(NEXT) | instid1(VALU_DEP_4)
	v_lshrrev_b16 v10, 1, v10
	v_sub_nc_u16 v20, v1, v3
	s_delay_alu instid0(VALU_DEP_4) | instskip(NEXT) | instid1(VALU_DEP_3)
	v_sub_nc_u16 v21, v2, v9
	v_and_b32_e32 v10, 0x7f, v10
	s_delay_alu instid0(VALU_DEP_3) | instskip(NEXT) | instid1(VALU_DEP_3)
	v_lshrrev_b16 v20, 1, v20
	v_lshrrev_b16 v21, 1, v21
	s_delay_alu instid0(VALU_DEP_3) | instskip(SKIP_1) | instid1(VALU_DEP_4)
	v_add_nc_u16 v0, v10, v0
	v_sub_nc_u16 v10, v8, v11
	v_and_b32_e32 v20, 0x7f, v20
	s_delay_alu instid0(VALU_DEP_3) | instskip(NEXT) | instid1(VALU_DEP_3)
	v_lshrrev_b16 v40, 3, v0
	v_lshrrev_b16 v0, 1, v10
	v_and_b32_e32 v10, 0x7f, v21
	s_delay_alu instid0(VALU_DEP_4) | instskip(NEXT) | instid1(VALU_DEP_4)
	v_add_nc_u16 v3, v20, v3
	v_mul_lo_u16 v20, v40, 11
	s_delay_alu instid0(VALU_DEP_4) | instskip(NEXT) | instid1(VALU_DEP_4)
	v_and_b32_e32 v0, 0x7f, v0
	v_add_nc_u16 v9, v10, v9
	s_delay_alu instid0(VALU_DEP_4) | instskip(NEXT) | instid1(VALU_DEP_4)
	v_lshrrev_b16 v41, 3, v3
	v_sub_nc_u16 v42, v85, v20
	s_delay_alu instid0(VALU_DEP_4) | instskip(NEXT) | instid1(VALU_DEP_4)
	v_add_nc_u16 v0, v0, v11
	v_lshrrev_b16 v43, 3, v9
	s_delay_alu instid0(VALU_DEP_4) | instskip(NEXT) | instid1(VALU_DEP_4)
	v_mul_lo_u16 v3, v41, 11
	v_lshlrev_b16 v9, 1, v42
	s_delay_alu instid0(VALU_DEP_4) | instskip(NEXT) | instid1(VALU_DEP_4)
	v_lshrrev_b16 v90, 3, v0
	v_mul_lo_u16 v0, v43, 11
	s_delay_alu instid0(VALU_DEP_4)
	v_sub_nc_u16 v1, v1, v3
	v_mad_u16 v40, v40, 33, v42
	v_and_b32_e32 v3, 0xfe, v9
	v_mul_lo_u16 v9, v90, 11
	v_sub_nc_u16 v0, v2, v0
	v_and_b32_e32 v44, 0xff, v1
	s_delay_alu instid0(VALU_DEP_4) | instskip(NEXT) | instid1(VALU_DEP_4)
	v_lshlrev_b32_e32 v1, 3, v3
	v_sub_nc_u16 v2, v8, v9
	s_delay_alu instid0(VALU_DEP_4) | instskip(NEXT) | instid1(VALU_DEP_4)
	v_and_b32_e32 v45, 0xff, v0
	v_lshlrev_b32_e32 v0, 4, v44
	global_load_b128 v[24:27], v1, s[10:11]
	v_and_b32_e32 v91, 0xff, v2
	global_load_b128 v[20:23], v0, s[10:11]
	v_lshlrev_b32_e32 v1, 4, v45
	v_and_b32_e32 v42, 0xffff, v43
	s_delay_alu instid0(VALU_DEP_1)
	v_mul_u32_u24_e32 v42, 33, v42
	s_wait_loadcnt_dscnt 0x103
	v_dual_mul_f32 v43, v6, v25 :: v_dual_lshlrev_b32 v0, 4, v91
	s_wait_loadcnt_dscnt 0x1
	v_mul_f32_e32 v46, v33, v21
	v_mul_f32_e32 v48, v31, v23
	s_delay_alu instid0(VALU_DEP_3)
	v_fmac_f32_e32 v43, v7, v24
	s_clause 0x1
	global_load_b128 v[8:11], v1, s[10:11]
	global_load_b128 v[0:3], v0, s[10:11]
	v_and_b32_e32 v41, 0xffff, v41
	v_dual_mul_f32 v49, v30, v23 :: v_dual_and_b32 v40, 0xff, v40
	v_mul_f32_e32 v47, v32, v21
	global_wb scope:SCOPE_SE
	s_wait_loadcnt_dscnt 0x0
	v_mul_u32_u24_e32 v41, 33, v41
	s_barrier_signal -1
	s_barrier_wait -1
	global_inv scope:SCOPE_SE
	v_dual_fmac_f32 v49, v31, v22 :: v_dual_mul_f32 v52, v37, v11
	v_mul_f32_e32 v55, v39, v3
	v_lshl_add_u32 v94, v40, 3, v87
	v_dual_mul_f32 v53, v36, v11 :: v_dual_add_nc_u32 v40, v41, v44
	v_add_nc_u32_e32 v41, v42, v45
	v_mul_f32_e32 v42, v7, v25
	v_mul_f32_e32 v44, v29, v27
	v_dual_mul_f32 v45, v28, v27 :: v_dual_mul_f32 v50, v35, v9
	v_lshl_add_u32 v93, v40, 3, v87
	s_delay_alu instid0(VALU_DEP_4) | instskip(NEXT) | instid1(VALU_DEP_4)
	v_fma_f32 v42, v6, v24, -v42
	v_fma_f32 v28, v28, v26, -v44
	s_delay_alu instid0(VALU_DEP_4)
	v_fmac_f32_e32 v45, v29, v26
	v_fma_f32 v29, v32, v20, -v46
	v_fma_f32 v32, v30, v22, -v48
	v_mul_f32_e32 v51, v34, v9
	v_mul_f32_e32 v54, v19, v1
	v_dual_mul_f32 v40, v38, v3 :: v_dual_fmac_f32 v47, v33, v20
	v_fma_f32 v30, v34, v8, -v50
	v_fma_f32 v34, v36, v10, -v52
	v_dual_add_f32 v36, v43, v45 :: v_dual_fmac_f32 v53, v37, v10
	v_fma_f32 v6, v38, v2, -v55
	v_dual_sub_f32 v38, v42, v28 :: v_dual_add_f32 v31, v12, v42
	v_dual_add_f32 v44, v15, v47 :: v_dual_add_f32 v33, v42, v28
	v_add_f32_e32 v46, v47, v49
	v_add_f32_e32 v42, v29, v32
	v_lshl_add_u32 v92, v41, 3, v87
	v_mul_f32_e32 v41, v18, v1
	v_dual_fmac_f32 v51, v35, v8 :: v_dual_add_f32 v48, v4, v30
	v_fma_f32 v7, v18, v0, -v54
	v_fmac_f32_e32 v40, v39, v2
	s_delay_alu instid0(VALU_DEP_4) | instskip(NEXT) | instid1(VALU_DEP_4)
	v_dual_fmac_f32 v41, v19, v0 :: v_dual_add_f32 v50, v30, v34
	v_dual_sub_f32 v37, v43, v45 :: v_dual_add_f32 v54, v5, v51
	v_dual_add_f32 v35, v13, v43 :: v_dual_sub_f32 v52, v51, v53
	s_delay_alu instid0(VALU_DEP_3)
	v_dual_sub_f32 v43, v47, v49 :: v_dual_add_f32 v82, v41, v40
	v_dual_sub_f32 v55, v30, v34 :: v_dual_add_f32 v28, v31, v28
	v_fma_f32 v30, -0.5, v33, v12
	v_add_f32_e32 v81, v7, v6
	v_add_f32_e32 v51, v51, v53
	v_dual_add_f32 v39, v14, v29 :: v_dual_sub_f32 v18, v41, v40
	v_fma_f32 v31, -0.5, v36, v13
	v_fma_f32 v14, -0.5, v42, v14
	v_sub_f32_e32 v19, v7, v6
	v_fma_f32 v13, -0.5, v82, v17
	v_fmamk_f32 v36, v37, 0x3f5db3d7, v30
	v_fmac_f32_e32 v30, 0xbf5db3d7, v37
	v_fma_f32 v12, -0.5, v81, v16
	v_dual_sub_f32 v47, v29, v32 :: v_dual_add_f32 v34, v48, v34
	v_fmac_f32_e32 v15, -0.5, v46
	v_fma_f32 v4, -0.5, v50, v4
	v_fmac_f32_e32 v5, -0.5, v51
	v_add_f32_e32 v29, v35, v45
	v_fmamk_f32 v37, v38, 0xbf5db3d7, v31
	s_delay_alu instid0(VALU_DEP_4)
	v_dual_fmac_f32 v31, 0x3f5db3d7, v38 :: v_dual_fmamk_f32 v42, v52, 0x3f5db3d7, v4
	v_fmamk_f32 v38, v43, 0x3f5db3d7, v14
	v_fmac_f32_e32 v14, 0xbf5db3d7, v43
	v_fmamk_f32 v81, v18, 0xbf5db3d7, v12
	v_fmamk_f32 v82, v19, 0x3f5db3d7, v13
	v_dual_add_f32 v32, v39, v32 :: v_dual_add_f32 v33, v44, v49
	v_fmamk_f32 v39, v47, 0xbf5db3d7, v15
	v_fmac_f32_e32 v15, 0x3f5db3d7, v47
	v_dual_add_f32 v35, v54, v53 :: v_dual_fmac_f32 v4, 0xbf5db3d7, v52
	v_fmamk_f32 v43, v55, 0xbf5db3d7, v5
	v_fmac_f32_e32 v5, 0x3f5db3d7, v55
	ds_store_2addr_b64 v94, v[28:29], v[36:37] offset1:11
	ds_store_b64 v94, v[30:31] offset:176
	ds_store_2addr_b64 v93, v[32:33], v[38:39] offset1:11
	ds_store_b64 v93, v[14:15] offset:176
	;; [unrolled: 2-line block ×3, first 2 shown]
	s_and_saveexec_b32 s2, vcc_lo
	s_cbranch_execz .LBB0_5
; %bb.4:
	v_dual_mul_f32 v5, 0x3f5db3d7, v19 :: v_dual_add_f32 v14, v17, v41
	v_and_b32_e32 v4, 0xffff, v90
	v_dual_mul_f32 v15, 0x3f5db3d7, v18 :: v_dual_add_f32 v16, v16, v7
	s_delay_alu instid0(VALU_DEP_3) | instskip(NEXT) | instid1(VALU_DEP_4)
	v_sub_f32_e32 v5, v13, v5
	v_add_f32_e32 v7, v14, v40
	s_delay_alu instid0(VALU_DEP_4) | instskip(NEXT) | instid1(VALU_DEP_4)
	v_mul_u32_u24_e32 v4, 33, v4
	v_add_f32_e32 v6, v16, v6
	s_delay_alu instid0(VALU_DEP_2) | instskip(NEXT) | instid1(VALU_DEP_1)
	v_dual_add_f32 v4, v15, v12 :: v_dual_add_nc_u32 v17, v4, v91
	v_lshl_add_u32 v12, v17, 3, v87
	ds_store_2addr_b64 v12, v[6:7], v[4:5] offset1:11
	ds_store_b64 v12, v[81:82] offset:176
.LBB0_5:
	s_wait_alu 0xfffe
	s_or_b32 exec_lo, exec_lo, s2
	v_mad_co_u64_u32 v[16:17], null, 0x50, v85, s[10:11]
	global_wb scope:SCOPE_SE
	s_wait_dscnt 0x0
	s_barrier_signal -1
	s_barrier_wait -1
	global_inv scope:SCOPE_SE
	s_add_nc_u64 s[2:3], s[8:9], 0xb58
	s_clause 0x4
	global_load_b128 v[32:35], v[16:17], off offset:176
	global_load_b128 v[28:31], v[16:17], off offset:192
	;; [unrolled: 1-line block ×5, first 2 shown]
	ds_load_2addr_b64 v[36:39], v86 offset1:33
	ds_load_2addr_b64 v[52:55], v86 offset0:66 offset1:99
	ds_load_2addr_b64 v[48:51], v86 offset0:132 offset1:165
	s_wait_loadcnt_dscnt 0x402
	v_dual_mul_f32 v96, v39, v33 :: v_dual_add_nc_u32 v95, 0x800, v86
	ds_load_2addr_b64 v[44:47], v86 offset0:198 offset1:231
	ds_load_2addr_b64 v[40:43], v95 offset0:8 offset1:41
	ds_load_b64 v[83:84], v86 offset:2640
	s_wait_loadcnt_dscnt 0x304
	v_dual_mul_f32 v99, v52, v35 :: v_dual_mul_f32 v100, v55, v29
	v_dual_mul_f32 v97, v38, v33 :: v_dual_mul_f32 v98, v53, v35
	s_wait_dscnt 0x3
	v_dual_mul_f32 v101, v54, v29 :: v_dual_mul_f32 v102, v49, v31
	s_wait_loadcnt 0x2
	v_mul_f32_e32 v105, v50, v13
	v_fma_f32 v38, v38, v32, -v96
	v_dual_mul_f32 v103, v48, v31 :: v_dual_mul_f32 v104, v51, v13
	v_fma_f32 v48, v48, v30, -v102
	s_wait_loadcnt_dscnt 0x101
	v_dual_mul_f32 v109, v46, v5 :: v_dual_mul_f32 v110, v41, v7
	s_wait_loadcnt_dscnt 0x0
	v_dual_mul_f32 v113, v42, v17 :: v_dual_mul_f32 v114, v84, v19
	v_mul_f32_e32 v106, v45, v15
	v_dual_mul_f32 v107, v44, v15 :: v_dual_mul_f32 v108, v47, v5
	v_dual_mul_f32 v111, v40, v7 :: v_dual_mul_f32 v112, v43, v17
	v_fma_f32 v40, v40, v6, -v110
	v_fmac_f32_e32 v99, v53, v34
	v_fma_f32 v53, v83, v18, -v114
	v_fmac_f32_e32 v97, v39, v32
	v_fma_f32 v39, v52, v34, -v98
	v_fma_f32 v52, v54, v28, -v100
	v_fma_f32 v44, v44, v14, -v106
	v_fmac_f32_e32 v107, v45, v14
	v_fma_f32 v45, v46, v4, -v108
	v_fmac_f32_e32 v111, v41, v6
	v_fmac_f32_e32 v109, v47, v4
	;; [unrolled: 1-line block ×3, first 2 shown]
	v_add_f32_e32 v41, v36, v38
	v_add_f32_e32 v43, v38, v53
	v_dual_sub_f32 v38, v38, v53 :: v_dual_mul_f32 v115, v83, v19
	v_fma_f32 v47, v42, v16, -v112
	v_add_f32_e32 v42, v37, v97
	v_add_f32_e32 v100, v48, v45
	s_delay_alu instid0(VALU_DEP_4) | instskip(SKIP_3) | instid1(VALU_DEP_4)
	v_fmac_f32_e32 v115, v84, v18
	v_fmac_f32_e32 v101, v55, v28
	v_dual_add_f32 v84, v52, v40 :: v_dual_fmac_f32 v103, v49, v30
	v_fma_f32 v49, v50, v12, -v104
	v_add_f32_e32 v46, v97, v115
	s_delay_alu instid0(VALU_DEP_4)
	v_add_f32_e32 v96, v101, v111
	v_sub_f32_e32 v104, v48, v45
	v_add_f32_e32 v54, v99, v113
	v_add_f32_e32 v102, v103, v109
	v_dual_sub_f32 v98, v101, v111 :: v_dual_fmac_f32 v105, v51, v12
	v_sub_f32_e32 v50, v97, v115
	v_dual_add_f32 v51, v39, v47 :: v_dual_sub_f32 v112, v49, v44
	v_sub_f32_e32 v55, v39, v47
	v_dual_sub_f32 v106, v103, v109 :: v_dual_add_f32 v39, v41, v39
	s_delay_alu instid0(VALU_DEP_4)
	v_dual_mul_f32 v116, 0xbf68dda4, v50 :: v_dual_add_f32 v41, v42, v99
	v_mul_f32_e32 v118, 0xbf7d64f0, v50
	v_dual_mul_f32 v42, 0xbf0a6770, v50 :: v_dual_sub_f32 v83, v99, v113
	v_dual_add_f32 v110, v105, v107 :: v_dual_sub_f32 v97, v52, v40
	v_sub_f32_e32 v114, v105, v107
	v_add_f32_e32 v108, v49, v44
	v_dual_mul_f32 v144, 0xbe903f40, v106 :: v_dual_add_f32 v39, v39, v52
	v_fma_f32 v52, 0x3f575c64, v43, -v42
	v_mul_f32_e32 v99, 0xbf0a6770, v38
	v_dual_mul_f32 v117, 0xbf68dda4, v38 :: v_dual_mul_f32 v122, 0xbf68dda4, v83
	v_mul_f32_e32 v119, 0xbf7d64f0, v38
	v_dual_mul_f32 v120, 0xbf4178ce, v50 :: v_dual_mul_f32 v125, 0xbf4178ce, v55
	v_dual_mul_f32 v121, 0xbf4178ce, v38 :: v_dual_mul_f32 v124, 0xbf4178ce, v83
	;; [unrolled: 1-line block ×16, first 2 shown]
	v_dual_mul_f32 v104, 0x3f68dda4, v104 :: v_dual_add_f32 v41, v41, v101
	v_dual_mul_f32 v150, 0xbf4178ce, v114 :: v_dual_mul_f32 v151, 0xbf4178ce, v112
	v_fmac_f32_e32 v42, 0x3f575c64, v43
	v_mul_f32_e32 v123, 0xbf68dda4, v55
	v_fma_f32 v154, 0x3ed4b147, v43, -v116
	v_dual_mul_f32 v55, 0x3f0a6770, v55 :: v_dual_add_f32 v52, v36, v52
	v_fmamk_f32 v101, v46, 0x3f575c64, v99
	v_mul_f32_e32 v146, 0xbe903f40, v114
	v_fma_f32 v99, 0x3f575c64, v46, -v99
	v_mul_f32_e32 v152, 0x3f68dda4, v114
	v_dual_fmamk_f32 v155, v46, 0x3ed4b147, v117 :: v_dual_fmac_f32 v116, 0x3ed4b147, v43
	v_mul_f32_e32 v149, 0x3f0a6770, v112
	v_mul_f32_e32 v112, 0xbf7d64f0, v112
	v_fma_f32 v117, 0x3ed4b147, v46, -v117
	v_mul_f32_e32 v114, 0xbf7d64f0, v114
	v_fma_f32 v156, 0xbe11bafb, v43, -v118
	v_dual_fmamk_f32 v157, v46, 0xbe11bafb, v119 :: v_dual_fmac_f32 v118, 0xbe11bafb, v43
	v_fma_f32 v119, 0xbe11bafb, v46, -v119
	v_fma_f32 v158, 0xbf27a4f4, v43, -v120
	v_dual_fmamk_f32 v159, v46, 0xbf27a4f4, v121 :: v_dual_fmac_f32 v120, 0xbf27a4f4, v43
	v_fma_f32 v121, 0xbf27a4f4, v46, -v121
	v_fma_f32 v160, 0xbf75a155, v43, -v50
	v_dual_fmamk_f32 v161, v46, 0xbf75a155, v38 :: v_dual_add_f32 v116, v36, v116
	v_dual_fmac_f32 v50, 0xbf75a155, v43 :: v_dual_fmamk_f32 v165, v54, 0xbf75a155, v127
	v_fma_f32 v38, 0xbf75a155, v46, -v38
	v_fma_f32 v43, 0x3ed4b147, v51, -v122
	v_dual_fmac_f32 v122, 0x3ed4b147, v51 :: v_dual_fmamk_f32 v173, v96, 0x3ed4b147, v135
	v_fma_f32 v162, 0xbf27a4f4, v51, -v124
	v_dual_fmamk_f32 v163, v54, 0xbf27a4f4, v125 :: v_dual_fmac_f32 v124, 0xbf27a4f4, v51
	v_fma_f32 v125, 0xbf27a4f4, v54, -v125
	v_fma_f32 v164, 0xbf75a155, v51, -v126
	v_dual_fmac_f32 v126, 0xbf75a155, v51 :: v_dual_fmamk_f32 v171, v96, 0xbf75a155, v133
	v_fma_f32 v127, 0xbf75a155, v54, -v127
	v_fma_f32 v166, 0xbe11bafb, v51, -v128
	v_dual_fmamk_f32 v167, v54, 0xbe11bafb, v129 :: v_dual_fmac_f32 v128, 0xbe11bafb, v51
	v_fma_f32 v129, 0xbe11bafb, v54, -v129
	v_fma_f32 v168, 0x3f575c64, v51, -v83
	v_fmamk_f32 v169, v54, 0x3f575c64, v55
	v_fmac_f32_e32 v83, 0x3f575c64, v51
	v_fma_f32 v51, 0x3f575c64, v54, -v55
	v_fmamk_f32 v55, v96, 0xbe11bafb, v131
	v_fma_f32 v131, 0xbe11bafb, v96, -v131
	v_fma_f32 v170, 0xbf75a155, v84, -v132
	v_dual_fmac_f32 v132, 0xbf75a155, v84 :: v_dual_fmamk_f32 v183, v102, 0xbf75a155, v145
	v_fma_f32 v133, 0xbf75a155, v96, -v133
	v_fma_f32 v172, 0x3ed4b147, v84, -v134
	v_dual_fmac_f32 v134, 0x3ed4b147, v84 :: v_dual_fmamk_f32 v191, v110, 0x3ed4b147, v153
	v_fma_f32 v135, 0x3ed4b147, v96, -v135
	v_fma_f32 v174, 0x3f575c64, v84, -v136
	v_dual_fmamk_f32 v175, v96, 0x3f575c64, v137 :: v_dual_fmac_f32 v136, 0x3f575c64, v84
	v_fma_f32 v137, 0x3f575c64, v96, -v137
	v_fma_f32 v176, 0xbf27a4f4, v84, -v98
	v_dual_fmamk_f32 v177, v96, 0xbf27a4f4, v97 :: v_dual_fmac_f32 v98, 0xbf27a4f4, v84
	v_fma_f32 v178, 0xbe11bafb, v100, -v140
	v_dual_fmamk_f32 v179, v102, 0xbe11bafb, v141 :: v_dual_fmac_f32 v140, 0xbe11bafb, v100
	v_fma_f32 v141, 0xbe11bafb, v102, -v141
	v_fma_f32 v180, 0x3f575c64, v100, -v142
	v_dual_fmamk_f32 v181, v102, 0x3f575c64, v143 :: v_dual_fmac_f32 v142, 0x3f575c64, v100
	v_fma_f32 v143, 0x3f575c64, v102, -v143
	v_fma_f32 v182, 0xbf75a155, v100, -v144
	v_dual_fmac_f32 v144, 0xbf75a155, v100 :: v_dual_add_f32 v119, v37, v119
	v_fma_f32 v145, 0xbf75a155, v102, -v145
	v_fma_f32 v184, 0x3ed4b147, v100, -v106
	v_fmac_f32_e32 v106, 0x3ed4b147, v100
	v_dual_fmamk_f32 v190, v110, 0xbf27a4f4, v151 :: v_dual_add_f32 v39, v39, v48
	v_dual_add_f32 v101, v37, v101 :: v_dual_add_f32 v42, v36, v42
	v_fmamk_f32 v46, v54, 0x3ed4b147, v123
	v_fma_f32 v123, 0x3ed4b147, v54, -v123
	v_fma_f32 v54, 0xbe11bafb, v84, -v130
	v_fmac_f32_e32 v130, 0xbe11bafb, v84
	v_fma_f32 v84, 0xbf27a4f4, v96, -v97
	v_fma_f32 v96, 0xbf27a4f4, v100, -v138
	v_dual_fmamk_f32 v97, v102, 0xbf27a4f4, v139 :: v_dual_fmac_f32 v138, 0xbf27a4f4, v100
	v_fma_f32 v139, 0xbf27a4f4, v102, -v139
	v_dual_fmamk_f32 v100, v102, 0x3ed4b147, v104 :: v_dual_add_f32 v121, v37, v121
	v_fma_f32 v102, 0x3ed4b147, v102, -v104
	v_fma_f32 v104, 0xbf75a155, v108, -v146
	v_dual_fmac_f32 v146, 0xbf75a155, v108 :: v_dual_add_f32 v41, v41, v103
	v_fma_f32 v185, 0x3f575c64, v108, -v148
	v_fmac_f32_e32 v148, 0x3f575c64, v108
	v_fma_f32 v186, 0xbf27a4f4, v108, -v150
	v_fmac_f32_e32 v150, 0xbf27a4f4, v108
	v_dual_fmamk_f32 v189, v110, 0x3f575c64, v149 :: v_dual_add_f32 v118, v36, v118
	v_fma_f32 v149, 0x3f575c64, v110, -v149
	v_fma_f32 v151, 0xbf27a4f4, v110, -v151
	v_fma_f32 v153, 0x3ed4b147, v110, -v153
	v_dual_fmamk_f32 v192, v110, 0xbe11bafb, v112 :: v_dual_add_f32 v99, v37, v99
	v_fma_f32 v187, 0x3ed4b147, v108, -v152
	v_dual_fmac_f32 v152, 0x3ed4b147, v108 :: v_dual_add_f32 v117, v37, v117
	v_fma_f32 v188, 0xbe11bafb, v108, -v114
	v_fmac_f32_e32 v114, 0xbe11bafb, v108
	v_fmamk_f32 v108, v110, 0xbf75a155, v147
	v_fma_f32 v147, 0xbf75a155, v110, -v147
	v_fma_f32 v110, 0xbe11bafb, v110, -v112
	v_add_f32_e32 v112, v36, v154
	v_dual_add_f32 v154, v37, v155 :: v_dual_add_f32 v155, v36, v156
	v_dual_add_f32 v156, v37, v157 :: v_dual_add_f32 v157, v36, v158
	v_add_f32_e32 v158, v37, v159
	v_add_f32_e32 v120, v36, v120
	v_dual_add_f32 v159, v36, v160 :: v_dual_add_f32 v48, v37, v161
	s_delay_alu instid0(VALU_DEP_4)
	v_dual_add_f32 v36, v36, v50 :: v_dual_add_f32 v103, v165, v156
	v_dual_add_f32 v37, v37, v38 :: v_dual_add_f32 v38, v39, v49
	v_add_f32_e32 v39, v41, v105
	v_add_f32_e32 v105, v126, v118
	;; [unrolled: 1-line block ×5, first 2 shown]
	v_dual_add_f32 v46, v123, v99 :: v_dual_add_f32 v49, v162, v112
	s_delay_alu instid0(VALU_DEP_4)
	v_dual_add_f32 v41, v54, v41 :: v_dual_add_f32 v52, v124, v116
	v_add_f32_e32 v99, v125, v117
	v_add_f32_e32 v117, v167, v158
	v_dual_add_f32 v50, v163, v154 :: v_dual_add_f32 v101, v164, v155
	v_add_f32_e32 v112, v127, v119
	v_dual_add_f32 v116, v166, v157 :: v_dual_add_f32 v39, v39, v107
	v_dual_add_f32 v118, v128, v120 :: v_dual_add_f32 v37, v51, v37
	v_dual_add_f32 v48, v169, v48 :: v_dual_add_f32 v43, v55, v43
	v_add_f32_e32 v36, v83, v36
	v_dual_add_f32 v38, v38, v44 :: v_dual_add_f32 v119, v129, v121
	v_add_f32_e32 v44, v131, v46
	v_dual_add_f32 v46, v170, v49 :: v_dual_add_f32 v51, v133, v99
	v_dual_add_f32 v120, v168, v159 :: v_dual_add_f32 v49, v171, v50
	v_dual_add_f32 v50, v132, v52 :: v_dual_add_f32 v39, v39, v109
	v_dual_add_f32 v52, v172, v101 :: v_dual_add_f32 v43, v97, v43
	s_delay_alu instid0(VALU_DEP_3)
	v_dual_add_f32 v54, v173, v103 :: v_dual_add_f32 v107, v176, v120
	v_add_f32_e32 v55, v134, v105
	v_dual_add_f32 v42, v130, v42 :: v_dual_add_f32 v83, v135, v112
	v_add_f32_e32 v99, v174, v116
	v_add_f32_e32 v101, v175, v117
	v_dual_add_f32 v103, v136, v118 :: v_dual_add_f32 v48, v177, v48
	v_dual_add_f32 v37, v84, v37 :: v_dual_add_f32 v36, v98, v36
	v_add_f32_e32 v41, v96, v41
	v_dual_add_f32 v38, v38, v45 :: v_dual_add_f32 v105, v137, v119
	v_add_f32_e32 v42, v138, v42
	v_dual_add_f32 v44, v139, v44 :: v_dual_add_f32 v45, v178, v46
	v_dual_add_f32 v46, v179, v49 :: v_dual_add_f32 v49, v140, v50
	;; [unrolled: 1-line block ×3, first 2 shown]
	v_add_f32_e32 v52, v181, v54
	v_dual_add_f32 v54, v142, v55 :: v_dual_add_f32 v97, v145, v105
	v_add_f32_e32 v96, v143, v83
	v_add_f32_e32 v55, v182, v99
	v_add_f32_e32 v83, v183, v101
	v_dual_add_f32 v101, v102, v37 :: v_dual_add_f32 v84, v144, v103
	v_add_f32_e32 v99, v100, v48
	v_dual_add_f32 v100, v106, v36 :: v_dual_add_f32 v103, v39, v111
	v_dual_add_f32 v102, v38, v40 :: v_dual_add_f32 v37, v108, v43
	;; [unrolled: 1-line block ×3, first 2 shown]
	s_delay_alu instid0(VALU_DEP_2)
	v_dual_add_f32 v42, v148, v49 :: v_dual_add_f32 v47, v102, v47
	v_add_f32_e32 v44, v186, v51
	v_add_f32_e32 v48, v187, v55
	v_dual_add_f32 v55, v103, v113 :: v_dual_add_f32 v98, v184, v107
	v_dual_add_f32 v36, v104, v41 :: v_dual_add_f32 v43, v149, v50
	v_add_f32_e32 v41, v189, v46
	v_dual_add_f32 v46, v150, v54 :: v_dual_add_f32 v51, v153, v97
	s_delay_alu instid0(VALU_DEP_4)
	v_dual_add_f32 v50, v152, v84 :: v_dual_add_f32 v55, v55, v115
	v_dual_add_f32 v54, v47, v53 :: v_dual_add_f32 v53, v192, v99
	;; [unrolled: 1-line block ×4, first 2 shown]
	v_add_f32_e32 v47, v151, v96
	v_add_f32_e32 v83, v114, v100
	;; [unrolled: 1-line block ×3, first 2 shown]
	ds_store_2addr_b64 v86, v[54:55], v[36:37] offset1:33
	ds_store_2addr_b64 v86, v[40:41], v[44:45] offset0:66 offset1:99
	ds_store_2addr_b64 v86, v[48:49], v[52:53] offset0:132 offset1:165
	;; [unrolled: 1-line block ×4, first 2 shown]
	ds_store_b64 v86, v[38:39] offset:2640
	global_wb scope:SCOPE_SE
	s_wait_dscnt 0x0
	s_barrier_signal -1
	s_barrier_wait -1
	global_inv scope:SCOPE_SE
	s_clause 0xa
	global_load_b64 v[56:57], v[56:57], off offset:2904
	global_load_b64 v[83:84], v89, s[2:3] offset:264
	global_load_b64 v[96:97], v89, s[2:3] offset:528
	;; [unrolled: 1-line block ×10, first 2 shown]
	ds_load_2addr_b64 v[36:39], v86 offset1:33
	ds_load_2addr_b64 v[40:43], v86 offset0:66 offset1:99
	ds_load_2addr_b64 v[44:47], v86 offset0:132 offset1:165
	;; [unrolled: 1-line block ×4, first 2 shown]
	ds_load_b64 v[114:115], v86 offset:2640
	s_wait_loadcnt_dscnt 0x905
	v_dual_mul_f32 v89, v37, v57 :: v_dual_mul_f32 v118, v39, v84
	s_wait_loadcnt_dscnt 0x704
	v_dual_mul_f32 v117, v36, v57 :: v_dual_mul_f32 v120, v43, v99
	v_dual_mul_f32 v57, v38, v84 :: v_dual_mul_f32 v84, v40, v97
	s_wait_loadcnt_dscnt 0x503
	v_dual_mul_f32 v119, v41, v97 :: v_dual_mul_f32 v122, v47, v103
	v_mul_f32_e32 v97, v42, v99
	s_wait_loadcnt_dscnt 0x302
	v_dual_mul_f32 v121, v45, v101 :: v_dual_mul_f32 v124, v51, v107
	s_wait_loadcnt_dscnt 0x101
	v_dual_mul_f32 v99, v44, v101 :: v_dual_mul_f32 v126, v55, v111
	v_mul_f32_e32 v101, v46, v103
	v_mul_f32_e32 v123, v49, v105
	;; [unrolled: 1-line block ×7, first 2 shown]
	s_wait_loadcnt_dscnt 0x0
	v_mul_f32_e32 v127, v115, v113
	v_mul_f32_e32 v111, v114, v113
	v_fma_f32 v116, v36, v56, -v89
	v_fmac_f32_e32 v117, v37, v56
	v_fma_f32 v56, v38, v83, -v118
	v_fmac_f32_e32 v57, v39, v83
	v_fma_f32 v83, v40, v96, -v119
	v_fmac_f32_e32 v84, v41, v96
	v_fma_f32 v96, v42, v98, -v120
	v_fmac_f32_e32 v97, v43, v98
	v_fma_f32 v98, v44, v100, -v121
	v_fmac_f32_e32 v99, v45, v100
	v_fma_f32 v100, v46, v102, -v122
	v_fmac_f32_e32 v101, v47, v102
	v_fma_f32 v102, v48, v104, -v123
	v_fmac_f32_e32 v103, v49, v104
	v_fma_f32 v104, v50, v106, -v124
	v_fmac_f32_e32 v105, v51, v106
	v_fma_f32 v106, v52, v108, -v125
	v_fmac_f32_e32 v107, v53, v108
	v_fma_f32 v108, v54, v110, -v126
	v_fmac_f32_e32 v109, v55, v110
	v_fma_f32 v110, v114, v112, -v127
	v_fmac_f32_e32 v111, v115, v112
	ds_store_2addr_b64 v86, v[116:117], v[56:57] offset1:33
	ds_store_2addr_b64 v86, v[83:84], v[96:97] offset0:66 offset1:99
	ds_store_2addr_b64 v86, v[98:99], v[100:101] offset0:132 offset1:165
	;; [unrolled: 1-line block ×4, first 2 shown]
	ds_store_b64 v86, v[110:111] offset:2640
	global_wb scope:SCOPE_SE
	s_wait_dscnt 0x0
	s_barrier_signal -1
	s_barrier_wait -1
	global_inv scope:SCOPE_SE
	ds_load_2addr_b64 v[44:47], v86 offset1:33
	ds_load_b64 v[56:57], v86 offset:2640
	ds_load_2addr_b64 v[52:55], v86 offset0:66 offset1:99
	ds_load_2addr_b64 v[36:39], v95 offset0:8 offset1:41
	;; [unrolled: 1-line block ×4, first 2 shown]
	global_wb scope:SCOPE_SE
	s_wait_dscnt 0x0
	s_barrier_signal -1
	s_barrier_wait -1
	global_inv scope:SCOPE_SE
	v_add_f32_e32 v84, v44, v46
	v_add_f32_e32 v96, v57, v47
	v_dual_add_f32 v89, v45, v47 :: v_dual_add_f32 v98, v39, v53
	v_dual_sub_f32 v47, v47, v57 :: v_dual_sub_f32 v100, v53, v39
	v_add_f32_e32 v102, v37, v55
	v_sub_f32_e32 v104, v55, v37
	s_delay_alu instid0(VALU_DEP_4)
	v_mul_f32_e32 v124, 0xbf75a155, v98
	v_dual_add_f32 v95, v56, v46 :: v_dual_sub_f32 v46, v46, v56
	v_dual_add_f32 v97, v38, v52 :: v_dual_mul_f32 v126, 0xbe11bafb, v98
	v_sub_f32_e32 v99, v52, v38
	v_dual_sub_f32 v103, v54, v36 :: v_dual_add_f32 v106, v43, v49
	v_sub_f32_e32 v108, v49, v43
	v_add_f32_e32 v110, v41, v51
	v_sub_f32_e32 v112, v51, v41
	v_dual_add_f32 v52, v84, v52 :: v_dual_add_f32 v53, v89, v53
	v_mul_f32_e32 v132, 0x3ed4b147, v102
	v_mul_f32_e32 v84, 0xbf0a6770, v47
	v_dual_mul_f32 v89, 0x3f575c64, v96 :: v_dual_mul_f32 v134, 0x3f575c64, v102
	s_delay_alu instid0(VALU_DEP_4)
	v_dual_mul_f32 v113, 0xbf68dda4, v47 :: v_dual_add_f32 v52, v52, v54
	v_mul_f32_e32 v114, 0x3ed4b147, v96
	v_mul_f32_e32 v116, 0xbe11bafb, v96
	;; [unrolled: 1-line block ×9, first 2 shown]
	s_delay_alu instid0(VALU_DEP_4)
	v_dual_mul_f32 v123, 0x3e903f40, v100 :: v_dual_fmamk_f32 v158, v46, 0x3e903f40, v96
	v_dual_mul_f32 v125, 0x3f7d64f0, v100 :: v_dual_fmamk_f32 v154, v46, 0x3f7d64f0, v116
	v_mul_f32_e32 v98, 0x3f575c64, v98
	v_mul_f32_e32 v127, 0xbf7d64f0, v104
	;; [unrolled: 1-line block ×3, first 2 shown]
	v_dual_mul_f32 v131, 0x3f68dda4, v104 :: v_dual_fmamk_f32 v152, v46, 0x3f68dda4, v114
	v_mul_f32_e32 v133, 0xbf0a6770, v104
	v_mul_f32_e32 v104, 0xbf4178ce, v104
	v_fmamk_f32 v166, v99, 0xbf0a6770, v98
	v_mul_f32_e32 v121, 0xbf4178ce, v100
	v_dual_mul_f32 v100, 0x3f0a6770, v100 :: v_dual_add_f32 v101, v36, v54
	v_dual_add_f32 v105, v42, v48 :: v_dual_mul_f32 v128, 0xbe11bafb, v102
	v_sub_f32_e32 v107, v48, v42
	v_dual_add_f32 v109, v40, v50 :: v_dual_fmamk_f32 v54, v95, 0x3f575c64, v84
	v_dual_sub_f32 v111, v50, v40 :: v_dual_mul_f32 v130, 0xbf75a155, v102
	v_dual_mul_f32 v47, 0xbe903f40, v47 :: v_dual_fmac_f32 v96, 0xbe903f40, v46
	v_dual_mul_f32 v102, 0xbf27a4f4, v102 :: v_dual_add_f32 v53, v53, v55
	v_mul_f32_e32 v135, 0xbf4178ce, v108
	v_mul_f32_e32 v137, 0x3f7d64f0, v108
	;; [unrolled: 1-line block ×3, first 2 shown]
	v_dual_mul_f32 v140, 0x3f575c64, v106 :: v_dual_fmamk_f32 v165, v97, 0x3f575c64, v100
	v_dual_mul_f32 v141, 0xbe903f40, v108 :: v_dual_fmamk_f32 v162, v99, 0xbe903f40, v124
	;; [unrolled: 1-line block ×3, first 2 shown]
	v_mul_f32_e32 v108, 0x3f68dda4, v108
	v_dual_mul_f32 v143, 0xbe903f40, v112 :: v_dual_fmamk_f32 v168, v103, 0xbe903f40, v130
	v_dual_mul_f32 v144, 0xbf75a155, v110 :: v_dual_fmamk_f32 v161, v97, 0xbf75a155, v123
	v_dual_mul_f32 v145, 0x3f0a6770, v112 :: v_dual_fmac_f32 v98, 0x3f0a6770, v99
	v_dual_mul_f32 v146, 0x3f575c64, v110 :: v_dual_fmamk_f32 v171, v101, 0x3f575c64, v133
	v_mul_f32_e32 v149, 0x3f68dda4, v112
	v_dual_mul_f32 v150, 0x3ed4b147, v110 :: v_dual_fmamk_f32 v169, v101, 0x3ed4b147, v131
	v_dual_fmamk_f32 v55, v46, 0x3f0a6770, v89 :: v_dual_fmamk_f32 v172, v103, 0x3f0a6770, v134
	v_fma_f32 v84, 0x3f575c64, v95, -v84
	v_fmamk_f32 v151, v95, 0x3ed4b147, v113
	v_fma_f32 v113, 0x3ed4b147, v95, -v113
	v_fmac_f32_e32 v114, 0xbf68dda4, v46
	v_fmac_f32_e32 v116, 0xbf7d64f0, v46
	v_dual_mul_f32 v138, 0xbe11bafb, v106 :: v_dual_fmamk_f32 v153, v95, 0xbe11bafb, v115
	v_fma_f32 v115, 0xbe11bafb, v95, -v115
	v_dual_fmamk_f32 v156, v46, 0x3f4178ce, v118 :: v_dual_add_f32 v55, v45, v55
	v_fmac_f32_e32 v118, 0xbf4178ce, v46
	v_dual_mul_f32 v136, 0xbf27a4f4, v106 :: v_dual_fmamk_f32 v155, v95, 0xbf27a4f4, v117
	v_mul_f32_e32 v106, 0x3ed4b147, v106
	v_mul_f32_e32 v147, 0xbf4178ce, v112
	;; [unrolled: 1-line block ×3, first 2 shown]
	v_fmac_f32_e32 v89, 0xbf0a6770, v46
	v_fma_f32 v117, 0xbf27a4f4, v95, -v117
	v_fmamk_f32 v160, v99, 0x3f4178ce, v122
	v_fmac_f32_e32 v122, 0xbf4178ce, v99
	v_dual_mul_f32 v148, 0xbf27a4f4, v110 :: v_dual_fmamk_f32 v159, v97, 0xbf27a4f4, v121
	v_dual_mul_f32 v110, 0xbe11bafb, v110 :: v_dual_fmamk_f32 v163, v97, 0xbe11bafb, v125
	v_dual_add_f32 v84, v44, v84 :: v_dual_add_nc_u32 v83, 0x400, v86
	v_fma_f32 v47, 0xbf75a155, v95, -v47
	v_fmamk_f32 v46, v97, 0x3ed4b147, v119
	v_dual_fmamk_f32 v95, v99, 0x3f68dda4, v120 :: v_dual_add_f32 v54, v44, v54
	v_fma_f32 v119, 0x3ed4b147, v97, -v119
	v_fma_f32 v121, 0xbf27a4f4, v97, -v121
	;; [unrolled: 1-line block ×3, first 2 shown]
	v_fmac_f32_e32 v124, 0x3e903f40, v99
	v_fmamk_f32 v164, v99, 0xbf7d64f0, v126
	v_fma_f32 v125, 0xbe11bafb, v97, -v125
	v_fmac_f32_e32 v126, 0x3f7d64f0, v99
	v_fma_f32 v97, 0x3f575c64, v97, -v100
	v_dual_fmamk_f32 v100, v103, 0x3f7d64f0, v128 :: v_dual_add_f32 v113, v44, v113
	v_fmac_f32_e32 v128, 0xbf7d64f0, v103
	v_fmamk_f32 v167, v101, 0xbf75a155, v129
	v_fma_f32 v129, 0xbf75a155, v101, -v129
	v_fmac_f32_e32 v130, 0x3e903f40, v103
	v_dual_fmamk_f32 v170, v103, 0xbf68dda4, v132 :: v_dual_add_f32 v115, v44, v115
	v_fma_f32 v131, 0x3ed4b147, v101, -v131
	v_fmac_f32_e32 v132, 0x3f68dda4, v103
	v_fma_f32 v133, 0x3f575c64, v101, -v133
	v_fmac_f32_e32 v134, 0xbf0a6770, v103
	v_fmamk_f32 v173, v101, 0xbf27a4f4, v104
	v_dual_fmamk_f32 v174, v103, 0x3f4178ce, v102 :: v_dual_add_f32 v117, v44, v117
	v_fmac_f32_e32 v102, 0xbf4178ce, v103
	v_dual_fmamk_f32 v103, v105, 0xbf27a4f4, v135 :: v_dual_add_f32 v48, v52, v48
	v_fma_f32 v135, 0xbf27a4f4, v105, -v135
	v_fmamk_f32 v175, v105, 0xbe11bafb, v137
	v_fmamk_f32 v176, v107, 0xbf7d64f0, v138
	v_fma_f32 v137, 0xbe11bafb, v105, -v137
	v_fmac_f32_e32 v138, 0x3f7d64f0, v107
	v_fmamk_f32 v177, v105, 0x3f575c64, v139
	v_fmamk_f32 v178, v107, 0x3f0a6770, v140
	v_fma_f32 v139, 0x3f575c64, v105, -v139
	v_fmac_f32_e32 v140, 0xbf0a6770, v107
	v_dual_fmac_f32 v120, 0xbf68dda4, v99 :: v_dual_add_f32 v89, v45, v89
	v_fmamk_f32 v99, v101, 0xbe11bafb, v127
	v_fma_f32 v127, 0xbe11bafb, v101, -v127
	v_fma_f32 v101, 0xbf27a4f4, v101, -v104
	v_dual_fmamk_f32 v104, v107, 0x3f4178ce, v136 :: v_dual_add_f32 v49, v53, v49
	v_fmac_f32_e32 v136, 0xbf4178ce, v107
	v_fmamk_f32 v179, v105, 0xbf75a155, v141
	v_fmamk_f32 v180, v107, 0x3e903f40, v142
	v_fma_f32 v141, 0xbf75a155, v105, -v141
	v_fmac_f32_e32 v142, 0xbe903f40, v107
	v_fmamk_f32 v181, v105, 0x3ed4b147, v108
	v_fmamk_f32 v182, v107, 0xbf68dda4, v106
	v_fma_f32 v105, 0x3ed4b147, v105, -v108
	v_fmamk_f32 v108, v111, 0x3e903f40, v144
	v_fmac_f32_e32 v144, 0xbe903f40, v111
	v_fmamk_f32 v183, v109, 0x3f575c64, v145
	v_fmamk_f32 v184, v111, 0xbf0a6770, v146
	v_fma_f32 v145, 0x3f575c64, v109, -v145
	v_fmac_f32_e32 v146, 0x3f0a6770, v111
	v_fmamk_f32 v185, v109, 0xbf27a4f4, v147
	v_fmamk_f32 v186, v111, 0x3f4178ce, v148
	v_fma_f32 v147, 0xbf27a4f4, v109, -v147
	v_fmac_f32_e32 v148, 0xbf4178ce, v111
	v_fmamk_f32 v188, v111, 0xbf68dda4, v150
	v_fmac_f32_e32 v150, 0x3f68dda4, v111
	v_add_f32_e32 v114, v45, v114
	v_add_f32_e32 v116, v45, v116
	v_fmac_f32_e32 v106, 0x3f68dda4, v107
	v_fmamk_f32 v107, v109, 0xbf75a155, v143
	v_fma_f32 v143, 0xbf75a155, v109, -v143
	v_add_f32_e32 v118, v45, v118
	v_fmamk_f32 v187, v109, 0x3ed4b147, v149
	v_fma_f32 v149, 0x3ed4b147, v109, -v149
	v_add_f32_e32 v52, v45, v158
	v_fmamk_f32 v189, v109, 0xbe11bafb, v112
	v_fma_f32 v109, 0xbe11bafb, v109, -v112
	v_fmamk_f32 v112, v111, 0x3f7d64f0, v110
	v_fmac_f32_e32 v110, 0xbf7d64f0, v111
	v_add_f32_e32 v111, v44, v151
	v_dual_add_f32 v151, v45, v152 :: v_dual_add_f32 v152, v44, v153
	v_dual_add_f32 v153, v45, v154 :: v_dual_add_f32 v154, v44, v155
	;; [unrolled: 1-line block ×7, first 2 shown]
	v_add_f32_e32 v53, v159, v111
	v_dual_add_f32 v54, v160, v151 :: v_dual_add_f32 v55, v121, v113
	v_dual_add_f32 v84, v122, v114 :: v_dual_add_f32 v89, v161, v152
	;; [unrolled: 1-line block ×3, first 2 shown]
	v_add_f32_e32 v111, v124, v116
	v_dual_add_f32 v114, v164, v155 :: v_dual_add_f32 v113, v163, v154
	v_dual_add_f32 v45, v98, v45 :: v_dual_add_f32 v44, v97, v44
	v_add_f32_e32 v115, v125, v117
	s_delay_alu instid0(VALU_DEP_3) | instskip(SKIP_1) | instid1(VALU_DEP_4)
	v_add_f32_e32 v97, v172, v114
	v_add_f32_e32 v41, v48, v41
	v_dual_add_f32 v45, v102, v45 :: v_dual_add_f32 v40, v47, v40
	v_dual_add_f32 v47, v100, v49 :: v_dual_add_f32 v48, v127, v50
	v_add_f32_e32 v49, v128, v51
	v_dual_add_f32 v51, v168, v54 :: v_dual_add_f32 v50, v167, v53
	v_dual_add_f32 v53, v129, v55 :: v_dual_add_f32 v54, v130, v84
	v_add_f32_e32 v55, v169, v89
	v_dual_add_f32 v89, v131, v96 :: v_dual_add_f32 v116, v126, v118
	v_add_f32_e32 v84, v170, v95
	v_dual_add_f32 v95, v132, v111 :: v_dual_add_f32 v52, v166, v52
	v_dual_add_f32 v117, v165, v156 :: v_dual_add_f32 v46, v99, v46
	s_delay_alu instid0(VALU_DEP_4) | instskip(NEXT) | instid1(VALU_DEP_3)
	v_add_f32_e32 v99, v134, v116
	v_dual_add_f32 v41, v41, v43 :: v_dual_add_f32 v52, v174, v52
	v_add_f32_e32 v40, v40, v42
	v_add_f32_e32 v43, v104, v47
	;; [unrolled: 1-line block ×3, first 2 shown]
	v_dual_add_f32 v96, v171, v113 :: v_dual_add_f32 v49, v176, v51
	v_dual_add_f32 v51, v138, v54 :: v_dual_add_f32 v98, v133, v115
	v_add_f32_e32 v100, v173, v117
	v_add_f32_e32 v44, v101, v44
	v_dual_add_f32 v42, v103, v46 :: v_dual_add_f32 v101, v106, v45
	v_dual_add_f32 v46, v135, v48 :: v_dual_add_f32 v103, v41, v37
	;; [unrolled: 1-line block ×4, first 2 shown]
	v_add_f32_e32 v53, v177, v55
	v_dual_add_f32 v55, v139, v89 :: v_dual_add_f32 v54, v178, v84
	v_add_f32_e32 v45, v184, v49
	v_dual_add_f32 v84, v140, v95 :: v_dual_add_f32 v89, v179, v96
	v_add_f32_e32 v95, v180, v97
	s_delay_alu instid0(VALU_DEP_4)
	v_add_f32_e32 v47, v186, v54
	v_add_f32_e32 v97, v142, v99
	;; [unrolled: 1-line block ×4, first 2 shown]
	v_dual_add_f32 v96, v141, v98 :: v_dual_add_f32 v37, v146, v51
	v_dual_add_f32 v98, v181, v100 :: v_dual_add_f32 v51, v188, v95
	v_add_f32_e32 v100, v105, v44
	v_dual_add_f32 v36, v145, v50 :: v_dual_add_f32 v49, v148, v84
	v_add_f32_e32 v50, v187, v89
	v_add_f32_e32 v95, v103, v39
	v_dual_add_f32 v44, v183, v48 :: v_dual_add_f32 v89, v102, v38
	v_add_f32_e32 v42, v107, v42
	v_add_f32_e32 v48, v147, v55
	v_dual_add_f32 v55, v112, v99 :: v_dual_add_f32 v54, v189, v98
	v_dual_add_f32 v40, v143, v46 :: v_dual_add_f32 v39, v110, v101
	v_add_f32_e32 v46, v185, v53
	v_dual_add_f32 v52, v149, v96 :: v_dual_add_f32 v57, v95, v57
	v_dual_add_f32 v53, v150, v97 :: v_dual_add_f32 v38, v109, v100
	v_add_f32_e32 v56, v89, v56
	ds_store_2addr_b64 v88, v[50:51], v[54:55] offset0:4 offset1:5
	ds_store_2addr_b64 v88, v[38:39], v[52:53] offset0:6 offset1:7
	ds_store_2addr_b64 v88, v[48:49], v[36:37] offset0:8 offset1:9
	ds_store_b64 v88, v[40:41] offset:80
	ds_store_2addr_b64 v88, v[44:45], v[46:47] offset0:2 offset1:3
	ds_store_2addr_b64 v88, v[56:57], v[42:43] offset1:1
	global_wb scope:SCOPE_SE
	s_wait_dscnt 0x0
	s_barrier_signal -1
	s_barrier_wait -1
	global_inv scope:SCOPE_SE
	ds_load_2addr_b64 v[46:49], v86 offset1:33
	ds_load_2addr_b64 v[42:45], v86 offset0:66 offset1:121
	ds_load_2addr_b64 v[54:57], v83 offset0:114 offset1:147
	;; [unrolled: 1-line block ×3, first 2 shown]
	ds_load_b64 v[83:84], v86 offset:2464
	s_and_saveexec_b32 s2, vcc_lo
	s_cbranch_execz .LBB0_7
; %bb.6:
	ds_load_2addr_b64 v[38:41], v86 offset0:99 offset1:220
	ds_load_b64 v[81:82], v86 offset:2728
	s_wait_dscnt 0x1
	v_dual_mov_b32 v36, v38 :: v_dual_mov_b32 v37, v39
.LBB0_7:
	s_wait_alu 0xfffe
	s_or_b32 exec_lo, exec_lo, s2
	s_wait_dscnt 0x2
	v_dual_mul_f32 v38, v25, v45 :: v_dual_mul_f32 v39, v27, v55
	v_mul_f32_e32 v27, v27, v54
	global_wb scope:SCOPE_SE
	s_wait_dscnt 0x0
	s_barrier_signal -1
	v_dual_fmac_f32 v38, v24, v44 :: v_dual_fmac_f32 v39, v26, v54
	v_mul_f32_e32 v25, v25, v44
	v_fma_f32 v26, v26, v55, -v27
	s_barrier_wait -1
	global_inv scope:SCOPE_SE
	v_fma_f32 v24, v24, v45, -v25
	v_mul_f32_e32 v25, v21, v51
	v_mul_f32_e32 v21, v21, v50
	s_delay_alu instid0(VALU_DEP_2) | instskip(NEXT) | instid1(VALU_DEP_1)
	v_dual_fmac_f32 v25, v20, v50 :: v_dual_mul_f32 v50, v11, v84
	v_fmac_f32_e32 v50, v10, v83
	s_delay_alu instid0(VALU_DEP_3) | instskip(SKIP_4) | instid1(VALU_DEP_3)
	v_fma_f32 v44, v20, v51, -v21
	v_mul_f32_e32 v45, v9, v53
	v_mul_f32_e32 v9, v9, v52
	v_sub_f32_e32 v21, v24, v26
	v_mul_f32_e32 v11, v11, v83
	v_fma_f32 v51, v8, v53, -v9
	v_add_f32_e32 v9, v46, v38
	v_mul_f32_e32 v27, v23, v57
	v_mul_f32_e32 v23, v23, v56
	s_delay_alu instid0(VALU_DEP_2) | instskip(NEXT) | instid1(VALU_DEP_2)
	v_fmac_f32_e32 v27, v22, v56
	v_fma_f32 v23, v22, v57, -v23
	v_fmac_f32_e32 v45, v8, v52
	v_add_f32_e32 v22, v47, v24
	v_add_f32_e32 v8, v38, v39
	v_fma_f32 v52, v10, v84, -v11
	s_delay_alu instid0(VALU_DEP_2) | instskip(NEXT) | instid1(VALU_DEP_1)
	v_fma_f32 v8, -0.5, v8, v46
	v_fmamk_f32 v20, v21, 0xbf5db3d7, v8
	v_dual_fmac_f32 v8, 0x3f5db3d7, v21 :: v_dual_add_f32 v11, v24, v26
	v_sub_f32_e32 v24, v38, v39
	v_sub_f32_e32 v38, v44, v23
	v_dual_add_f32 v10, v9, v39 :: v_dual_sub_f32 v39, v51, v52
	s_delay_alu instid0(VALU_DEP_4) | instskip(SKIP_2) | instid1(VALU_DEP_2)
	v_fma_f32 v9, -0.5, v11, v47
	v_dual_add_f32 v11, v22, v26 :: v_dual_add_f32 v22, v25, v27
	v_add_f32_e32 v26, v48, v25
	v_fma_f32 v48, -0.5, v22, v48
	s_delay_alu instid0(VALU_DEP_4) | instskip(SKIP_1) | instid1(VALU_DEP_4)
	v_fmamk_f32 v21, v24, 0x3f5db3d7, v9
	v_dual_fmac_f32 v9, 0xbf5db3d7, v24 :: v_dual_add_f32 v24, v44, v23
	v_add_f32_e32 v22, v26, v27
	v_add_f32_e32 v26, v49, v44
	s_delay_alu instid0(VALU_DEP_3)
	v_dual_add_f32 v44, v43, v51 :: v_dual_fmac_f32 v49, -0.5, v24
	v_fmamk_f32 v24, v38, 0xbf5db3d7, v48
	v_fmac_f32_e32 v48, 0x3f5db3d7, v38
	v_dual_add_f32 v38, v42, v45 :: v_dual_sub_f32 v27, v25, v27
	v_dual_add_f32 v23, v26, v23 :: v_dual_add_f32 v26, v45, v50
	v_sub_f32_e32 v45, v45, v50
	s_delay_alu instid0(VALU_DEP_2) | instskip(NEXT) | instid1(VALU_DEP_4)
	v_fma_f32 v42, -0.5, v26, v42
	v_dual_add_f32 v26, v38, v50 :: v_dual_fmamk_f32 v25, v27, 0x3f5db3d7, v49
	v_fmac_f32_e32 v49, 0xbf5db3d7, v27
	v_add_f32_e32 v27, v51, v52
	s_delay_alu instid0(VALU_DEP_4) | instskip(SKIP_1) | instid1(VALU_DEP_3)
	v_fmamk_f32 v38, v39, 0xbf5db3d7, v42
	v_fmac_f32_e32 v42, 0x3f5db3d7, v39
	v_fmac_f32_e32 v43, -0.5, v27
	v_add_f32_e32 v27, v44, v52
	s_delay_alu instid0(VALU_DEP_2)
	v_fmamk_f32 v39, v45, 0x3f5db3d7, v43
	v_fmac_f32_e32 v43, 0xbf5db3d7, v45
	ds_store_2addr_b64 v94, v[10:11], v[20:21] offset1:11
	ds_store_b64 v94, v[8:9] offset:176
	ds_store_2addr_b64 v93, v[22:23], v[24:25] offset1:11
	ds_store_b64 v93, v[48:49] offset:176
	ds_store_2addr_b64 v92, v[26:27], v[38:39] offset1:11
	ds_store_b64 v92, v[42:43] offset:176
	s_and_saveexec_b32 s2, vcc_lo
	s_cbranch_execz .LBB0_9
; %bb.8:
	v_dual_mul_f32 v8, v1, v40 :: v_dual_mul_f32 v9, v3, v81
	v_dual_mul_f32 v10, v1, v41 :: v_dual_mul_f32 v11, v3, v82
	s_delay_alu instid0(VALU_DEP_2) | instskip(NEXT) | instid1(VALU_DEP_3)
	v_fma_f32 v3, v0, v41, -v8
	v_fma_f32 v8, v2, v82, -v9
	s_delay_alu instid0(VALU_DEP_3) | instskip(NEXT) | instid1(VALU_DEP_2)
	v_dual_fmac_f32 v10, v0, v40 :: v_dual_fmac_f32 v11, v2, v81
	v_dual_add_f32 v1, v3, v8 :: v_dual_and_b32 v0, 0xffff, v90
	v_sub_f32_e32 v21, v3, v8
	s_delay_alu instid0(VALU_DEP_3) | instskip(NEXT) | instid1(VALU_DEP_3)
	v_sub_f32_e32 v9, v10, v11
	v_mul_u32_u24_e32 v2, 33, v0
	v_add_f32_e32 v0, v10, v11
	v_fma_f32 v1, -0.5, v1, v37
	v_add_f32_e32 v10, v36, v10
	v_add_f32_e32 v20, v37, v3
	v_add_nc_u32_e32 v22, v2, v91
	v_fma_f32 v0, -0.5, v0, v36
	v_fmamk_f32 v3, v9, 0xbf5db3d7, v1
	v_fmac_f32_e32 v1, 0x3f5db3d7, v9
	v_dual_add_f32 v9, v20, v8 :: v_dual_add_f32 v8, v10, v11
	s_delay_alu instid0(VALU_DEP_4)
	v_fmamk_f32 v2, v21, 0x3f5db3d7, v0
	v_fmac_f32_e32 v0, 0xbf5db3d7, v21
	v_lshl_add_u32 v10, v22, 3, v87
	ds_store_2addr_b64 v10, v[8:9], v[0:1] offset1:11
	ds_store_b64 v10, v[2:3] offset:176
.LBB0_9:
	s_wait_alu 0xfffe
	s_or_b32 exec_lo, exec_lo, s2
	global_wb scope:SCOPE_SE
	s_wait_dscnt 0x0
	s_barrier_signal -1
	s_barrier_wait -1
	global_inv scope:SCOPE_SE
	ds_load_2addr_b64 v[8:11], v86 offset1:33
	ds_load_2addr_b64 v[20:23], v86 offset0:66 offset1:99
	ds_load_2addr_b64 v[24:27], v86 offset0:132 offset1:165
	v_add_nc_u32_e32 v0, 0x800, v86
	s_mov_b32 s2, 0x3a88d0c0
	s_mov_b32 s3, 0x3f669147
	s_wait_dscnt 0x2
	v_mul_f32_e32 v3, v33, v11
	ds_load_2addr_b64 v[36:39], v86 offset0:198 offset1:231
	ds_load_b64 v[1:2], v86 offset:2640
	ds_load_2addr_b64 v[40:43], v0 offset0:8 offset1:41
	s_wait_dscnt 0x4
	v_dual_mul_f32 v33, v33, v10 :: v_dual_mul_f32 v44, v35, v21
	s_wait_dscnt 0x3
	v_dual_mul_f32 v45, v29, v23 :: v_dual_mul_f32 v46, v31, v25
	v_mul_f32_e32 v29, v29, v22
	v_mul_f32_e32 v47, v13, v27
	v_fmac_f32_e32 v3, v32, v10
	v_fma_f32 v10, v32, v11, -v33
	v_mul_f32_e32 v35, v35, v20
	v_fmac_f32_e32 v45, v28, v22
	v_mul_f32_e32 v13, v13, v26
	v_mul_f32_e32 v31, v31, v24
	v_fmac_f32_e32 v44, v34, v20
	v_fma_f32 v20, v28, v23, -v29
	v_dual_fmac_f32 v46, v30, v24 :: v_dual_fmac_f32 v47, v12, v26
	v_add_f32_e32 v24, v9, v10
	v_fma_f32 v11, v34, v21, -v35
	s_wait_dscnt 0x2
	v_mul_f32_e32 v22, v15, v37
	v_fma_f32 v12, v12, v27, -v13
	v_add_f32_e32 v23, v8, v3
	v_mul_f32_e32 v13, v15, v36
	s_delay_alu instid0(VALU_DEP_4) | instskip(NEXT) | instid1(VALU_DEP_3)
	v_fmac_f32_e32 v22, v14, v36
	v_add_f32_e32 v15, v23, v44
	v_add_f32_e32 v23, v24, v11
	v_mul_f32_e32 v24, v5, v39
	v_fma_f32 v21, v30, v25, -v31
	s_delay_alu instid0(VALU_DEP_2)
	v_fmac_f32_e32 v24, v4, v38
	v_fma_f32 v13, v14, v37, -v13
	v_add_f32_e32 v14, v15, v45
	v_add_f32_e32 v15, v23, v20
	s_wait_dscnt 0x0
	v_mul_f32_e32 v23, v7, v41
	v_mul_f32_e32 v7, v7, v40
	s_delay_alu instid0(VALU_DEP_2) | instskip(NEXT) | instid1(VALU_DEP_2)
	v_fmac_f32_e32 v23, v6, v40
	v_fma_f32 v6, v6, v41, -v7
	v_mul_f32_e32 v7, v19, v1
	v_mul_f32_e32 v19, v19, v2
	s_delay_alu instid0(VALU_DEP_2) | instskip(NEXT) | instid1(VALU_DEP_2)
	v_fma_f32 v2, v18, v2, -v7
	v_fmac_f32_e32 v19, v18, v1
	v_mul_f32_e32 v5, v5, v38
	v_mul_f32_e32 v7, v17, v42
	s_delay_alu instid0(VALU_DEP_2) | instskip(SKIP_3) | instid1(VALU_DEP_3)
	v_fma_f32 v4, v4, v39, -v5
	v_dual_add_f32 v5, v14, v46 :: v_dual_add_f32 v14, v15, v21
	v_mul_f32_e32 v15, v17, v43
	v_sub_f32_e32 v17, v10, v2
	v_dual_add_f32 v10, v10, v2 :: v_dual_add_f32 v5, v5, v47
	s_delay_alu instid0(VALU_DEP_4) | instskip(NEXT) | instid1(VALU_DEP_3)
	v_add_f32_e32 v14, v14, v12
	v_mul_f32_e32 v32, 0xbf4178ce, v17
	s_delay_alu instid0(VALU_DEP_3) | instskip(NEXT) | instid1(VALU_DEP_3)
	v_mul_f32_e32 v26, 0x3ed4b147, v10
	v_dual_add_f32 v5, v5, v22 :: v_dual_add_f32 v14, v14, v13
	v_mul_f32_e32 v35, 0xbf27a4f4, v10
	v_mul_f32_e32 v25, 0x3f575c64, v10
	;; [unrolled: 1-line block ×3, first 2 shown]
	s_delay_alu instid0(VALU_DEP_4) | instskip(SKIP_1) | instid1(VALU_DEP_2)
	v_add_f32_e32 v5, v5, v24
	v_add_f32_e32 v14, v14, v4
	v_dual_mul_f32 v10, 0xbf75a155, v10 :: v_dual_add_f32 v1, v5, v23
	s_delay_alu instid0(VALU_DEP_2) | instskip(SKIP_1) | instid1(VALU_DEP_2)
	v_dual_add_f32 v5, v14, v6 :: v_dual_add_f32 v14, v3, v19
	v_sub_f32_e32 v3, v3, v19
	v_dual_fmac_f32 v15, v16, v42 :: v_dual_fmamk_f32 v34, v14, 0xbf27a4f4, v32
	s_delay_alu instid0(VALU_DEP_2)
	v_fmamk_f32 v28, v3, 0x3f68dda4, v26
	v_fmamk_f32 v36, v3, 0x3f4178ce, v35
	v_mul_f32_e32 v29, 0xbf7d64f0, v17
	v_fmac_f32_e32 v26, 0xbf68dda4, v3
	v_fma_f32 v32, 0xbf27a4f4, v14, -v32
	v_fmamk_f32 v38, v3, 0x3e903f40, v10
	v_add_f32_e32 v36, v9, v36
	v_fmamk_f32 v30, v14, 0xbe11bafb, v29
	v_fma_f32 v7, v16, v43, -v7
	v_mul_f32_e32 v16, 0xbf0a6770, v17
	v_add_f32_e32 v26, v9, v26
	v_add_f32_e32 v32, v8, v32
	v_dual_add_f32 v30, v8, v30 :: v_dual_add_f32 v1, v1, v15
	v_dual_add_f32 v5, v5, v7 :: v_dual_add_f32 v34, v8, v34
	v_dual_fmamk_f32 v18, v14, 0x3f575c64, v16 :: v_dual_sub_f32 v39, v11, v7
	s_delay_alu instid0(VALU_DEP_3) | instskip(SKIP_3) | instid1(VALU_DEP_3)
	v_add_f32_e32 v1, v1, v19
	v_dual_mul_f32 v19, 0xbf68dda4, v17 :: v_dual_add_f32 v38, v9, v38
	v_mul_f32_e32 v17, 0xbe903f40, v17
	v_dual_add_f32 v7, v11, v7 :: v_dual_add_f32 v2, v5, v2
	v_dual_fmamk_f32 v27, v14, 0x3ed4b147, v19 :: v_dual_add_f32 v40, v44, v15
	v_fma_f32 v19, 0x3ed4b147, v14, -v19
	s_delay_alu instid0(VALU_DEP_4)
	v_fmamk_f32 v37, v14, 0xbf75a155, v17
	v_dual_add_f32 v5, v8, v18 :: v_dual_fmac_f32 v10, 0xbe903f40, v3
	v_fmamk_f32 v18, v3, 0x3f0a6770, v25
	v_fma_f32 v16, 0x3f575c64, v14, -v16
	v_add_f32_e32 v19, v8, v19
	v_fmamk_f32 v33, v3, 0x3f7d64f0, v31
	v_fma_f32 v29, 0xbe11bafb, v14, -v29
	v_fmac_f32_e32 v31, 0xbf7d64f0, v3
	v_add_f32_e32 v37, v8, v37
	v_fmac_f32_e32 v35, 0xbf4178ce, v3
	v_fma_f32 v14, 0xbf75a155, v14, -v17
	v_fmac_f32_e32 v25, 0xbf0a6770, v3
	v_sub_f32_e32 v3, v44, v15
	v_dual_mul_f32 v15, 0x3ed4b147, v7 :: v_dual_add_f32 v18, v9, v18
	v_add_f32_e32 v16, v8, v16
	v_add_f32_e32 v27, v8, v27
	v_add_f32_e32 v29, v8, v29
	v_dual_mul_f32 v11, 0xbf68dda4, v39 :: v_dual_add_f32 v8, v8, v14
	v_dual_fmamk_f32 v14, v3, 0x3f68dda4, v15 :: v_dual_add_f32 v25, v9, v25
	v_add_f32_e32 v28, v9, v28
	v_add_f32_e32 v31, v9, v31
	;; [unrolled: 1-line block ×3, first 2 shown]
	v_fmamk_f32 v17, v40, 0x3ed4b147, v11
	v_dual_fmac_f32 v15, 0xbf68dda4, v3 :: v_dual_add_f32 v14, v14, v18
	v_dual_mul_f32 v18, 0xbf27a4f4, v7 :: v_dual_add_f32 v33, v9, v33
	v_dual_add_f32 v9, v9, v10 :: v_dual_mul_f32 v10, 0xbf4178ce, v39
	s_delay_alu instid0(VALU_DEP_4)
	v_add_f32_e32 v5, v17, v5
	v_fma_f32 v11, 0x3ed4b147, v40, -v11
	v_add_f32_e32 v15, v15, v25
	v_fmamk_f32 v25, v3, 0x3f4178ce, v18
	v_fmamk_f32 v17, v40, 0xbf27a4f4, v10
	v_fma_f32 v10, 0xbf27a4f4, v40, -v10
	s_delay_alu instid0(VALU_DEP_3) | instskip(SKIP_1) | instid1(VALU_DEP_2)
	v_dual_fmac_f32 v18, 0xbf4178ce, v3 :: v_dual_add_f32 v25, v25, v28
	v_mul_f32_e32 v28, 0x3f7d64f0, v39
	v_add_f32_e32 v18, v18, v26
	s_delay_alu instid0(VALU_DEP_4) | instskip(SKIP_2) | instid1(VALU_DEP_1)
	v_dual_add_f32 v10, v10, v19 :: v_dual_add_f32 v11, v11, v16
	v_add_f32_e32 v16, v17, v27
	v_mul_f32_e32 v27, 0xbf75a155, v7
	v_fmamk_f32 v19, v3, 0xbe903f40, v27
	s_delay_alu instid0(VALU_DEP_1) | instskip(SKIP_2) | instid1(VALU_DEP_2)
	v_add_f32_e32 v19, v19, v33
	v_fmamk_f32 v33, v40, 0xbe11bafb, v28
	v_fma_f32 v28, 0xbe11bafb, v40, -v28
	v_add_f32_e32 v33, v33, v34
	s_delay_alu instid0(VALU_DEP_2) | instskip(NEXT) | instid1(VALU_DEP_1)
	v_dual_mul_f32 v17, 0x3e903f40, v39 :: v_dual_add_f32 v28, v28, v32
	v_fmamk_f32 v41, v40, 0xbf75a155, v17
	v_fma_f32 v17, 0xbf75a155, v40, -v17
	s_delay_alu instid0(VALU_DEP_2) | instskip(NEXT) | instid1(VALU_DEP_2)
	v_add_f32_e32 v26, v41, v30
	v_add_f32_e32 v17, v17, v29
	v_mul_f32_e32 v29, 0x3f0a6770, v39
	s_delay_alu instid0(VALU_DEP_1) | instskip(SKIP_1) | instid1(VALU_DEP_1)
	v_fmamk_f32 v34, v40, 0x3f575c64, v29
	v_fma_f32 v29, 0x3f575c64, v40, -v29
	v_dual_add_f32 v8, v29, v8 :: v_dual_fmac_f32 v27, 0x3e903f40, v3
	v_mul_f32_e32 v30, 0xbe11bafb, v7
	s_delay_alu instid0(VALU_DEP_4) | instskip(SKIP_1) | instid1(VALU_DEP_4)
	v_dual_mul_f32 v7, 0x3f575c64, v7 :: v_dual_add_f32 v32, v34, v37
	v_sub_f32_e32 v34, v20, v6
	v_dual_add_f32 v6, v20, v6 :: v_dual_add_f32 v27, v27, v31
	s_delay_alu instid0(VALU_DEP_4) | instskip(SKIP_1) | instid1(VALU_DEP_4)
	v_fmamk_f32 v31, v3, 0xbf7d64f0, v30
	v_fmac_f32_e32 v30, 0x3f7d64f0, v3
	v_dual_add_f32 v20, v45, v23 :: v_dual_mul_f32 v29, 0x3e903f40, v34
	s_delay_alu instid0(VALU_DEP_2) | instskip(SKIP_2) | instid1(VALU_DEP_2)
	v_dual_add_f32 v31, v31, v36 :: v_dual_add_f32 v30, v30, v35
	v_fmamk_f32 v35, v3, 0xbf0a6770, v7
	v_mul_f32_e32 v36, 0xbf7d64f0, v34
	v_add_f32_e32 v35, v35, v38
	v_mul_f32_e32 v38, 0x3ed4b147, v6
	v_fmac_f32_e32 v7, 0x3f0a6770, v3
	v_sub_f32_e32 v3, v45, v23
	v_mul_f32_e32 v23, 0xbe11bafb, v6
	v_fmamk_f32 v37, v20, 0xbe11bafb, v36
	v_fma_f32 v36, 0xbe11bafb, v20, -v36
	v_add_f32_e32 v7, v7, v9
	s_delay_alu instid0(VALU_DEP_4) | instskip(SKIP_1) | instid1(VALU_DEP_2)
	v_fmamk_f32 v9, v3, 0x3f7d64f0, v23
	v_fmac_f32_e32 v23, 0xbf7d64f0, v3
	v_dual_add_f32 v9, v9, v14 :: v_dual_fmamk_f32 v14, v20, 0xbf75a155, v29
	v_add_f32_e32 v5, v37, v5
	v_mul_f32_e32 v37, 0xbf75a155, v6
	v_fma_f32 v29, 0xbf75a155, v20, -v29
	s_delay_alu instid0(VALU_DEP_4) | instskip(NEXT) | instid1(VALU_DEP_3)
	v_add_f32_e32 v14, v14, v16
	v_fmamk_f32 v16, v3, 0xbe903f40, v37
	s_delay_alu instid0(VALU_DEP_3) | instskip(SKIP_1) | instid1(VALU_DEP_3)
	v_dual_fmac_f32 v37, 0x3e903f40, v3 :: v_dual_add_f32 v10, v29, v10
	v_add_f32_e32 v11, v36, v11
	v_dual_mul_f32 v29, 0xbf0a6770, v34 :: v_dual_add_f32 v16, v16, v25
	s_delay_alu instid0(VALU_DEP_3) | instskip(SKIP_2) | instid1(VALU_DEP_2)
	v_dual_add_f32 v18, v37, v18 :: v_dual_add_f32 v15, v23, v15
	v_mul_f32_e32 v23, 0x3f68dda4, v34
	v_mul_f32_e32 v34, 0xbf4178ce, v34
	v_fmamk_f32 v36, v20, 0x3ed4b147, v23
	v_fma_f32 v23, 0x3ed4b147, v20, -v23
	s_delay_alu instid0(VALU_DEP_2) | instskip(SKIP_4) | instid1(VALU_DEP_2)
	v_add_f32_e32 v25, v36, v26
	v_mul_f32_e32 v36, 0x3f575c64, v6
	v_mul_f32_e32 v6, 0xbf27a4f4, v6
	v_fmamk_f32 v26, v3, 0xbf68dda4, v38
	v_dual_fmac_f32 v38, 0x3f68dda4, v3 :: v_dual_add_f32 v17, v23, v17
	v_dual_add_f32 v19, v26, v19 :: v_dual_fmamk_f32 v26, v20, 0x3f575c64, v29
	v_fma_f32 v29, 0x3f575c64, v20, -v29
	s_delay_alu instid0(VALU_DEP_2) | instskip(SKIP_4) | instid1(VALU_DEP_2)
	v_add_f32_e32 v26, v26, v33
	v_add_f32_e32 v33, v46, v24
	;; [unrolled: 1-line block ×3, first 2 shown]
	v_fmamk_f32 v27, v3, 0x3f0a6770, v36
	v_fmac_f32_e32 v36, 0xbf0a6770, v3
	v_dual_add_f32 v28, v29, v28 :: v_dual_add_f32 v27, v27, v31
	v_fmamk_f32 v31, v20, 0xbf27a4f4, v34
	v_fma_f32 v20, 0xbf27a4f4, v20, -v34
	s_delay_alu instid0(VALU_DEP_2)
	v_add_f32_e32 v31, v31, v32
	v_fmamk_f32 v32, v3, 0x3f4178ce, v6
	v_dual_fmac_f32 v6, 0xbf4178ce, v3 :: v_dual_sub_f32 v3, v46, v24
	v_dual_add_f32 v29, v36, v30 :: v_dual_sub_f32 v30, v21, v4
	v_add_f32_e32 v4, v21, v4
	v_add_f32_e32 v8, v20, v8
	;; [unrolled: 1-line block ×3, first 2 shown]
	s_delay_alu instid0(VALU_DEP_4) | instskip(NEXT) | instid1(VALU_DEP_4)
	v_mul_f32_e32 v20, 0x3f7d64f0, v30
	v_mul_f32_e32 v24, 0xbf27a4f4, v4
	s_delay_alu instid0(VALU_DEP_1) | instskip(NEXT) | instid1(VALU_DEP_1)
	v_dual_add_f32 v6, v6, v7 :: v_dual_fmamk_f32 v7, v3, 0x3f4178ce, v24
	v_dual_fmac_f32 v24, 0xbf4178ce, v3 :: v_dual_add_f32 v7, v7, v9
	s_delay_alu instid0(VALU_DEP_1) | instskip(SKIP_2) | instid1(VALU_DEP_2)
	v_add_f32_e32 v15, v24, v15
	v_mul_f32_e32 v21, 0xbf4178ce, v30
	v_mul_f32_e32 v9, 0xbe11bafb, v4
	v_fmamk_f32 v34, v33, 0xbf27a4f4, v21
	v_fma_f32 v21, 0xbf27a4f4, v33, -v21
	s_delay_alu instid0(VALU_DEP_2) | instskip(SKIP_1) | instid1(VALU_DEP_3)
	v_dual_fmamk_f32 v24, v3, 0xbf7d64f0, v9 :: v_dual_add_f32 v5, v34, v5
	v_fmamk_f32 v34, v33, 0xbe11bafb, v20
	v_add_f32_e32 v11, v21, v11
	v_mul_f32_e32 v21, 0xbf0a6770, v30
	v_fma_f32 v20, 0xbe11bafb, v33, -v20
	v_add_f32_e32 v16, v24, v16
	v_add_f32_e32 v14, v34, v14
	v_mul_f32_e32 v24, 0x3f575c64, v4
	v_fmamk_f32 v34, v33, 0x3f575c64, v21
	v_add_f32_e32 v10, v20, v10
	v_fma_f32 v21, 0x3f575c64, v33, -v21
	s_delay_alu instid0(VALU_DEP_3) | instskip(NEXT) | instid1(VALU_DEP_2)
	v_add_f32_e32 v20, v34, v25
	v_dual_mul_f32 v34, 0xbf75a155, v4 :: v_dual_add_f32 v17, v21, v17
	v_mul_f32_e32 v4, 0x3ed4b147, v4
	s_delay_alu instid0(VALU_DEP_2) | instskip(SKIP_1) | instid1(VALU_DEP_2)
	v_fmamk_f32 v21, v3, 0x3e903f40, v34
	v_fmac_f32_e32 v34, 0xbe903f40, v3
	v_add_f32_e32 v21, v21, v27
	v_fmac_f32_e32 v9, 0x3f7d64f0, v3
	v_fmamk_f32 v27, v3, 0xbf68dda4, v4
	v_fmac_f32_e32 v4, 0x3f68dda4, v3
	s_delay_alu instid0(VALU_DEP_2) | instskip(SKIP_4) | instid1(VALU_DEP_4)
	v_dual_add_f32 v18, v9, v18 :: v_dual_add_f32 v27, v27, v32
	v_dual_fmamk_f32 v25, v3, 0x3f0a6770, v24 :: v_dual_add_f32 v32, v12, v13
	v_add_f32_e32 v29, v34, v29
	v_mul_f32_e32 v9, 0xbe903f40, v30
	v_fmac_f32_e32 v24, 0xbf0a6770, v3
	v_add_f32_e32 v19, v25, v19
	v_dual_mul_f32 v25, 0x3f68dda4, v30 :: v_dual_sub_f32 v30, v12, v13
	s_delay_alu instid0(VALU_DEP_4) | instskip(NEXT) | instid1(VALU_DEP_4)
	v_fmamk_f32 v35, v33, 0xbf75a155, v9
	v_add_f32_e32 v23, v24, v23
	v_fma_f32 v9, 0xbf75a155, v33, -v9
	s_delay_alu instid0(VALU_DEP_4) | instskip(NEXT) | instid1(VALU_DEP_4)
	v_fma_f32 v12, 0x3ed4b147, v33, -v25
	v_dual_mul_f32 v13, 0xbf75a155, v32 :: v_dual_add_f32 v24, v35, v26
	v_fmamk_f32 v26, v33, 0x3ed4b147, v25
	s_delay_alu instid0(VALU_DEP_4) | instskip(NEXT) | instid1(VALU_DEP_4)
	v_dual_add_f32 v28, v9, v28 :: v_dual_mul_f32 v9, 0xbe903f40, v30
	v_dual_add_f32 v25, v12, v8 :: v_dual_mul_f32 v8, 0x3f0a6770, v30
	s_delay_alu instid0(VALU_DEP_3) | instskip(SKIP_2) | instid1(VALU_DEP_3)
	v_dual_add_f32 v26, v26, v31 :: v_dual_add_f32 v31, v47, v22
	v_sub_f32_e32 v22, v47, v22
	v_dual_add_f32 v33, v4, v6 :: v_dual_mul_f32 v12, 0x3f575c64, v32
	v_fmamk_f32 v3, v31, 0xbf75a155, v9
	s_delay_alu instid0(VALU_DEP_3) | instskip(SKIP_1) | instid1(VALU_DEP_3)
	v_fmamk_f32 v4, v22, 0x3e903f40, v13
	v_fmac_f32_e32 v13, 0xbe903f40, v22
	v_add_f32_e32 v3, v3, v5
	v_fma_f32 v5, 0xbf75a155, v31, -v9
	s_delay_alu instid0(VALU_DEP_4) | instskip(NEXT) | instid1(VALU_DEP_1)
	v_dual_fmamk_f32 v9, v31, 0x3f575c64, v8 :: v_dual_add_f32 v4, v4, v7
	v_add_f32_e32 v7, v9, v14
	v_fmamk_f32 v9, v22, 0xbf0a6770, v12
	v_fmac_f32_e32 v12, 0x3f0a6770, v22
	v_dual_mul_f32 v14, 0xbf27a4f4, v32 :: v_dual_add_f32 v5, v5, v11
	v_fma_f32 v11, 0x3f575c64, v31, -v8
	s_delay_alu instid0(VALU_DEP_1) | instskip(NEXT) | instid1(VALU_DEP_4)
	v_dual_add_f32 v8, v9, v16 :: v_dual_add_f32 v9, v11, v10
	v_add_f32_e32 v10, v12, v18
	s_delay_alu instid0(VALU_DEP_4) | instskip(SKIP_3) | instid1(VALU_DEP_4)
	v_fmamk_f32 v12, v22, 0x3f4178ce, v14
	v_dual_add_f32 v6, v13, v15 :: v_dual_mul_f32 v13, 0xbf4178ce, v30
	v_mul_f32_e32 v15, 0x3f68dda4, v30
	v_mul_f32_e32 v18, 0x3ed4b147, v32
	v_add_f32_e32 v12, v12, v19
	v_fmac_f32_e32 v14, 0xbf4178ce, v22
	v_fmamk_f32 v11, v31, 0xbf27a4f4, v13
	v_fma_f32 v13, 0xbf27a4f4, v31, -v13
	v_fmamk_f32 v16, v31, 0x3ed4b147, v15
	v_fma_f32 v19, 0x3ed4b147, v31, -v15
	s_delay_alu instid0(VALU_DEP_4) | instskip(NEXT) | instid1(VALU_DEP_4)
	v_dual_add_f32 v14, v14, v23 :: v_dual_add_f32 v11, v11, v20
	v_add_f32_e32 v13, v13, v17
	v_fmamk_f32 v17, v22, 0xbf68dda4, v18
	v_dual_add_f32 v15, v16, v24 :: v_dual_mul_f32 v20, 0xbf7d64f0, v30
	v_mul_f32_e32 v24, 0xbe11bafb, v32
	v_fmac_f32_e32 v18, 0x3f68dda4, v22
	s_delay_alu instid0(VALU_DEP_4) | instskip(NEXT) | instid1(VALU_DEP_4)
	v_dual_add_f32 v16, v17, v21 :: v_dual_add_f32 v17, v19, v28
	v_fmamk_f32 v19, v31, 0xbe11bafb, v20
	s_delay_alu instid0(VALU_DEP_4) | instskip(SKIP_2) | instid1(VALU_DEP_4)
	v_fmamk_f32 v21, v22, 0x3f7d64f0, v24
	v_fma_f32 v28, 0xbe11bafb, v31, -v20
	v_fmac_f32_e32 v24, 0xbf7d64f0, v22
	v_dual_add_f32 v18, v18, v29 :: v_dual_add_f32 v19, v19, v26
	s_delay_alu instid0(VALU_DEP_3) | instskip(NEXT) | instid1(VALU_DEP_3)
	v_dual_add_f32 v20, v21, v27 :: v_dual_add_f32 v21, v28, v25
	v_add_f32_e32 v22, v24, v33
	ds_store_2addr_b64 v86, v[1:2], v[3:4] offset1:33
	ds_store_2addr_b64 v86, v[7:8], v[11:12] offset0:66 offset1:99
	ds_store_2addr_b64 v86, v[15:16], v[19:20] offset0:132 offset1:165
	;; [unrolled: 1-line block ×4, first 2 shown]
	ds_store_b64 v86, v[5:6] offset:2640
	global_wb scope:SCOPE_SE
	s_wait_dscnt 0x0
	s_barrier_signal -1
	s_barrier_wait -1
	global_inv scope:SCOPE_SE
	ds_load_2addr_b64 v[1:4], v86 offset1:33
	v_mad_co_u64_u32 v[17:18], null, s6, v58, 0
	v_mad_co_u64_u32 v[23:24], null, s4, v85, 0
	s_wait_dscnt 0x0
	v_mul_f32_e32 v5, v80, v2
	v_mul_f32_e32 v6, v80, v1
	s_delay_alu instid0(VALU_DEP_2) | instskip(NEXT) | instid1(VALU_DEP_2)
	v_fmac_f32_e32 v5, v79, v1
	v_fma_f32 v6, v79, v2, -v6
	s_delay_alu instid0(VALU_DEP_2) | instskip(NEXT) | instid1(VALU_DEP_2)
	v_cvt_f64_f32_e32 v[1:2], v5
	v_cvt_f64_f32_e32 v[9:10], v6
	ds_load_2addr_b64 v[5:8], v86 offset0:66 offset1:99
	s_wait_dscnt 0x0
	v_mul_f32_e32 v13, v78, v6
	s_delay_alu instid0(VALU_DEP_1) | instskip(NEXT) | instid1(VALU_DEP_1)
	v_dual_mul_f32 v14, v62, v8 :: v_dual_fmac_f32 v13, v77, v5
	v_fmac_f32_e32 v14, v61, v7
	v_mul_f32_e32 v7, v62, v7
	s_delay_alu instid0(VALU_DEP_3) | instskip(NEXT) | instid1(VALU_DEP_3)
	v_cvt_f64_f32_e32 v[27:28], v13
	v_cvt_f64_f32_e32 v[31:32], v14
	s_delay_alu instid0(VALU_DEP_3)
	v_fma_f32 v7, v61, v8, -v7
	s_wait_alu 0xfffe
	v_mul_f64_e32 v[19:20], s[2:3], v[1:2]
	v_mul_f32_e32 v1, v76, v4
	v_mul_f32_e32 v2, v76, v3
	v_mul_f64_e32 v[21:22], s[2:3], v[9:10]
	ds_load_2addr_b64 v[9:12], v86 offset0:132 offset1:165
	v_cvt_f64_f32_e32 v[7:8], v7
	v_fmac_f32_e32 v1, v75, v3
	v_mul_f32_e32 v3, v78, v5
	v_fma_f32 v2, v75, v4, -v2
	s_delay_alu instid0(VALU_DEP_3) | instskip(NEXT) | instid1(VALU_DEP_3)
	v_cvt_f64_f32_e32 v[25:26], v1
	v_fma_f32 v15, v77, v6, -v3
	s_delay_alu instid0(VALU_DEP_3)
	v_cvt_f64_f32_e32 v[5:6], v2
	ds_load_2addr_b64 v[1:4], v86 offset0:198 offset1:231
	v_cvt_f64_f32_e32 v[29:30], v15
	ds_load_2addr_b64 v[13:16], v0 offset0:8 offset1:41
	s_wait_dscnt 0x2
	v_dual_mul_f32 v35, v70, v11 :: v_dual_mul_f32 v0, v68, v10
	v_dual_mul_f32 v33, v68, v9 :: v_dual_mul_f32 v34, v70, v12
	s_delay_alu instid0(VALU_DEP_2)
	v_fma_f32 v37, v69, v12, -v35
	ds_load_b64 v[35:36], v86 offset:2640
	v_fmac_f32_e32 v0, v67, v9
	v_fma_f32 v33, v67, v10, -v33
	v_fmac_f32_e32 v34, v69, v11
	s_wait_dscnt 0x2
	v_mul_f32_e32 v41, v64, v3
	v_mul_f32_e32 v40, v64, v4
	v_cvt_f64_f32_e32 v[9:10], v0
	v_mul_f32_e32 v0, v60, v2
	s_wait_dscnt 0x1
	v_mul_f32_e32 v43, v66, v14
	v_fma_f32 v4, v63, v4, -v41
	v_mul_f32_e32 v39, v60, v1
	v_cvt_f64_f32_e32 v[11:12], v33
	v_mul_f32_e32 v45, v72, v16
	v_fmac_f32_e32 v43, v65, v13
	v_cvt_f64_f32_e32 v[41:42], v4
	v_dual_mul_f32 v4, v66, v13 :: v_dual_mul_f32 v13, v72, v15
	v_fmac_f32_e32 v0, v59, v1
	v_fma_f32 v2, v59, v2, -v39
	v_fmac_f32_e32 v40, v63, v3
	s_wait_dscnt 0x0
	v_mul_f32_e32 v46, v74, v36
	v_mul_f64_e32 v[5:6], s[2:3], v[5:6]
	v_mul_f32_e32 v47, v74, v35
	v_fma_f32 v4, v65, v14, -v4
	v_fmac_f32_e32 v45, v71, v15
	v_fma_f32 v48, v71, v16, -v13
	v_fmac_f32_e32 v46, v73, v35
	v_fma_f32 v47, v73, v36, -v47
	v_cvt_f64_f32_e32 v[33:34], v34
	v_cvt_f64_f32_e32 v[37:38], v37
	;; [unrolled: 1-line block ×11, first 2 shown]
	v_mul_f64_e32 v[25:26], s[2:3], v[25:26]
	v_mad_co_u64_u32 v[49:50], null, s7, v58, v[18:19]
	v_mov_b32_e32 v4, v24
	v_cvt_f32_f64_e32 v19, v[19:20]
	v_mul_f64_e32 v[27:28], s[2:3], v[27:28]
	v_mul_f64_e32 v[29:30], s[2:3], v[29:30]
	v_cvt_f32_f64_e32 v20, v[21:22]
	v_mul_f64_e32 v[21:22], s[2:3], v[31:32]
	v_mov_b32_e32 v18, v49
	v_mul_f64_e32 v[7:8], s[2:3], v[7:8]
	v_mul_f64_e32 v[9:10], s[2:3], v[9:10]
	;; [unrolled: 1-line block ×3, first 2 shown]
	s_delay_alu instid0(VALU_DEP_4) | instskip(SKIP_1) | instid1(VALU_DEP_2)
	v_lshlrev_b64_e32 v[17:18], 3, v[17:18]
	v_mad_co_u64_u32 v[50:51], null, s5, v85, v[4:5]
	v_add_co_u32 v4, vcc_lo, s0, v17
	s_wait_alu 0xfffd
	s_delay_alu instid0(VALU_DEP_3) | instskip(SKIP_2) | instid1(VALU_DEP_4)
	v_add_co_ci_u32_e32 v49, vcc_lo, s1, v18, vcc_lo
	v_cvt_f32_f64_e32 v5, v[5:6]
	s_mul_u64 s[0:1], s[4:5], 0x108
	v_mov_b32_e32 v24, v50
	v_mul_f64_e32 v[31:32], s[2:3], v[37:38]
	v_mul_f64_e32 v[0:1], s[2:3], v[0:1]
	;; [unrolled: 1-line block ×4, first 2 shown]
	v_lshlrev_b64_e32 v[17:18], 3, v[23:24]
	v_mul_f64_e32 v[23:24], s[2:3], v[33:34]
	v_mul_f64_e32 v[33:34], s[2:3], v[39:40]
	;; [unrolled: 1-line block ×8, first 2 shown]
	v_add_co_u32 v17, vcc_lo, v4, v17
	v_cvt_f32_f64_e32 v4, v[25:26]
	s_wait_alu 0xfffd
	v_add_co_ci_u32_e32 v18, vcc_lo, v49, v18, vcc_lo
	v_cvt_f32_f64_e32 v27, v[27:28]
	v_cvt_f32_f64_e32 v28, v[29:30]
	;; [unrolled: 1-line block ×4, first 2 shown]
	s_wait_alu 0xfffe
	v_add_co_u32 v25, vcc_lo, v17, s0
	s_wait_alu 0xfffd
	v_add_co_ci_u32_e32 v26, vcc_lo, s1, v18, vcc_lo
	v_cvt_f32_f64_e32 v8, v[9:10]
	v_cvt_f32_f64_e32 v9, v[11:12]
	v_add_co_u32 v29, vcc_lo, v25, s0
	s_wait_alu 0xfffd
	v_add_co_ci_u32_e32 v30, vcc_lo, s1, v26, vcc_lo
	global_store_b64 v[17:18], v[19:20], off
	v_add_co_u32 v10, vcc_lo, v29, s0
	s_wait_alu 0xfffd
	v_add_co_ci_u32_e32 v11, vcc_lo, s1, v30, vcc_lo
	v_cvt_f32_f64_e32 v22, v[31:32]
	v_cvt_f32_f64_e32 v0, v[0:1]
	;; [unrolled: 1-line block ×4, first 2 shown]
	v_add_co_u32 v31, vcc_lo, v10, s0
	v_cvt_f32_f64_e32 v21, v[23:24]
	v_cvt_f32_f64_e32 v2, v[33:34]
	;; [unrolled: 1-line block ×8, first 2 shown]
	s_wait_alu 0xfffd
	v_add_co_ci_u32_e32 v32, vcc_lo, s1, v11, vcc_lo
	v_add_co_u32 v16, vcc_lo, v31, s0
	global_store_b64 v[25:26], v[4:5], off
	s_wait_alu 0xfffd
	v_add_co_ci_u32_e32 v17, vcc_lo, s1, v32, vcc_lo
	v_add_co_u32 v4, vcc_lo, v16, s0
	global_store_b64 v[29:30], v[27:28], off
	;; [unrolled: 4-line block ×4, first 2 shown]
	s_wait_alu 0xfffd
	v_add_co_ci_u32_e32 v7, vcc_lo, s1, v19, vcc_lo
	v_add_co_u32 v8, vcc_lo, v6, s0
	s_wait_alu 0xfffd
	s_delay_alu instid0(VALU_DEP_2) | instskip(NEXT) | instid1(VALU_DEP_2)
	v_add_co_ci_u32_e32 v9, vcc_lo, s1, v7, vcc_lo
	v_add_co_u32 v10, vcc_lo, v8, s0
	s_wait_alu 0xfffd
	s_delay_alu instid0(VALU_DEP_2)
	v_add_co_ci_u32_e32 v11, vcc_lo, s1, v9, vcc_lo
	global_store_b64 v[16:17], v[21:22], off
	global_store_b64 v[4:5], v[0:1], off
	;; [unrolled: 1-line block ×6, first 2 shown]
.LBB0_10:
	s_nop 0
	s_sendmsg sendmsg(MSG_DEALLOC_VGPRS)
	s_endpgm
	.section	.rodata,"a",@progbits
	.p2align	6, 0x0
	.amdhsa_kernel bluestein_single_fwd_len363_dim1_sp_op_CI_CI
		.amdhsa_group_segment_fixed_size 8712
		.amdhsa_private_segment_fixed_size 0
		.amdhsa_kernarg_size 104
		.amdhsa_user_sgpr_count 2
		.amdhsa_user_sgpr_dispatch_ptr 0
		.amdhsa_user_sgpr_queue_ptr 0
		.amdhsa_user_sgpr_kernarg_segment_ptr 1
		.amdhsa_user_sgpr_dispatch_id 0
		.amdhsa_user_sgpr_private_segment_size 0
		.amdhsa_wavefront_size32 1
		.amdhsa_uses_dynamic_stack 0
		.amdhsa_enable_private_segment 0
		.amdhsa_system_sgpr_workgroup_id_x 1
		.amdhsa_system_sgpr_workgroup_id_y 0
		.amdhsa_system_sgpr_workgroup_id_z 0
		.amdhsa_system_sgpr_workgroup_info 0
		.amdhsa_system_vgpr_workitem_id 0
		.amdhsa_next_free_vgpr 193
		.amdhsa_next_free_sgpr 20
		.amdhsa_reserve_vcc 1
		.amdhsa_float_round_mode_32 0
		.amdhsa_float_round_mode_16_64 0
		.amdhsa_float_denorm_mode_32 3
		.amdhsa_float_denorm_mode_16_64 3
		.amdhsa_fp16_overflow 0
		.amdhsa_workgroup_processor_mode 1
		.amdhsa_memory_ordered 1
		.amdhsa_forward_progress 0
		.amdhsa_round_robin_scheduling 0
		.amdhsa_exception_fp_ieee_invalid_op 0
		.amdhsa_exception_fp_denorm_src 0
		.amdhsa_exception_fp_ieee_div_zero 0
		.amdhsa_exception_fp_ieee_overflow 0
		.amdhsa_exception_fp_ieee_underflow 0
		.amdhsa_exception_fp_ieee_inexact 0
		.amdhsa_exception_int_div_zero 0
	.end_amdhsa_kernel
	.text
.Lfunc_end0:
	.size	bluestein_single_fwd_len363_dim1_sp_op_CI_CI, .Lfunc_end0-bluestein_single_fwd_len363_dim1_sp_op_CI_CI
                                        ; -- End function
	.section	.AMDGPU.csdata,"",@progbits
; Kernel info:
; codeLenInByte = 13740
; NumSgprs: 22
; NumVgprs: 193
; ScratchSize: 0
; MemoryBound: 0
; FloatMode: 240
; IeeeMode: 1
; LDSByteSize: 8712 bytes/workgroup (compile time only)
; SGPRBlocks: 2
; VGPRBlocks: 24
; NumSGPRsForWavesPerEU: 22
; NumVGPRsForWavesPerEU: 193
; Occupancy: 7
; WaveLimiterHint : 1
; COMPUTE_PGM_RSRC2:SCRATCH_EN: 0
; COMPUTE_PGM_RSRC2:USER_SGPR: 2
; COMPUTE_PGM_RSRC2:TRAP_HANDLER: 0
; COMPUTE_PGM_RSRC2:TGID_X_EN: 1
; COMPUTE_PGM_RSRC2:TGID_Y_EN: 0
; COMPUTE_PGM_RSRC2:TGID_Z_EN: 0
; COMPUTE_PGM_RSRC2:TIDIG_COMP_CNT: 0
	.text
	.p2alignl 7, 3214868480
	.fill 96, 4, 3214868480
	.type	__hip_cuid_ba0e7e0bf6742d3a,@object ; @__hip_cuid_ba0e7e0bf6742d3a
	.section	.bss,"aw",@nobits
	.globl	__hip_cuid_ba0e7e0bf6742d3a
__hip_cuid_ba0e7e0bf6742d3a:
	.byte	0                               ; 0x0
	.size	__hip_cuid_ba0e7e0bf6742d3a, 1

	.ident	"AMD clang version 19.0.0git (https://github.com/RadeonOpenCompute/llvm-project roc-6.4.0 25133 c7fe45cf4b819c5991fe208aaa96edf142730f1d)"
	.section	".note.GNU-stack","",@progbits
	.addrsig
	.addrsig_sym __hip_cuid_ba0e7e0bf6742d3a
	.amdgpu_metadata
---
amdhsa.kernels:
  - .args:
      - .actual_access:  read_only
        .address_space:  global
        .offset:         0
        .size:           8
        .value_kind:     global_buffer
      - .actual_access:  read_only
        .address_space:  global
        .offset:         8
        .size:           8
        .value_kind:     global_buffer
      - .actual_access:  read_only
        .address_space:  global
        .offset:         16
        .size:           8
        .value_kind:     global_buffer
      - .actual_access:  read_only
        .address_space:  global
        .offset:         24
        .size:           8
        .value_kind:     global_buffer
      - .actual_access:  read_only
        .address_space:  global
        .offset:         32
        .size:           8
        .value_kind:     global_buffer
      - .offset:         40
        .size:           8
        .value_kind:     by_value
      - .address_space:  global
        .offset:         48
        .size:           8
        .value_kind:     global_buffer
      - .address_space:  global
        .offset:         56
        .size:           8
        .value_kind:     global_buffer
      - .address_space:  global
        .offset:         64
        .size:           8
        .value_kind:     global_buffer
      - .address_space:  global
        .offset:         72
        .size:           8
        .value_kind:     global_buffer
      - .offset:         80
        .size:           4
        .value_kind:     by_value
      - .address_space:  global
        .offset:         88
        .size:           8
        .value_kind:     global_buffer
      - .address_space:  global
        .offset:         96
        .size:           8
        .value_kind:     global_buffer
    .group_segment_fixed_size: 8712
    .kernarg_segment_align: 8
    .kernarg_segment_size: 104
    .language:       OpenCL C
    .language_version:
      - 2
      - 0
    .max_flat_workgroup_size: 99
    .name:           bluestein_single_fwd_len363_dim1_sp_op_CI_CI
    .private_segment_fixed_size: 0
    .sgpr_count:     22
    .sgpr_spill_count: 0
    .symbol:         bluestein_single_fwd_len363_dim1_sp_op_CI_CI.kd
    .uniform_work_group_size: 1
    .uses_dynamic_stack: false
    .vgpr_count:     193
    .vgpr_spill_count: 0
    .wavefront_size: 32
    .workgroup_processor_mode: 1
amdhsa.target:   amdgcn-amd-amdhsa--gfx1201
amdhsa.version:
  - 1
  - 2
...

	.end_amdgpu_metadata
